;; amdgpu-corpus repo=ROCm/aiter kind=harvested arch=n/a opt=n/a

/root/src/amdgpu-assembly/repos/ROCm__aiter/hsa/gfx942/fmha_v3_bwd/bwd_hd128_bf16_causal_a32_rtne_psskddv_group.co:	file format elf64-amdgpu

Disassembly of section .text:

0000000000003e00 <_ZN5aiter49fmha_bwd_hd128_bf16_causal_a32_rtne_psskddv_groupE>:
	s_and_b32 s1, s1, 0xffff                                   // 000000003E00: 8601FF01 0000FFFF
	s_load_dwordx2 s[32:33], s[0:1], 0x0                       // 000000003E08: C0060800 00000000
	s_load_dwordx2 s[36:37], s[0:1], 0x10                      // 000000003E10: C0060900 00000010
	s_load_dwordx2 s[40:41], s[0:1], 0x20                      // 000000003E18: C0060A00 00000020
	s_load_dwordx2 s[8:9], s[0:1], 0x30                        // 000000003E20: C0060200 00000030
	s_load_dwordx2 s[12:13], s[0:1], 0x40                      // 000000003E28: C0060300 00000040
	s_load_dwordx2 s[16:17], s[0:1], 0x50                      // 000000003E30: C0060400 00000050
	s_load_dwordx2 s[20:21], s[0:1], 0x60                      // 000000003E38: C0060500 00000060
	s_load_dwordx2 s[24:25], s[0:1], 0x70                      // 000000003E40: C0060600 00000070
	s_load_dwordx2 s[28:29], s[0:1], 0x80                      // 000000003E48: C0060700 00000080
	s_load_dword s47, s[0:1], 0x90                             // 000000003E50: C0020BC0 00000090
	s_load_dword s48, s[0:1], 0xa0                             // 000000003E58: C0020C00 000000A0
	s_load_dword s78, s[0:1], 0xd0                             // 000000003E60: C0021380 000000D0
	s_load_dword s5, s[0:1], 0xf0                              // 000000003E68: C0020140 000000F0
	s_load_dword s44, s[0:1], 0x100                            // 000000003E70: C0020B00 00000100
	s_load_dword s79, s[0:1], 0x110                            // 000000003E78: C00213C0 00000110
	s_load_dword s6, s[0:1], 0x130                             // 000000003E80: C0020180 00000130
	s_load_dword s52, s[0:1], 0x140                            // 000000003E88: C0020D00 00000140
	s_load_dword s50, s[0:1], 0x160                            // 000000003E90: C0020C80 00000160
	s_load_dword s80, s[0:1], 0x190                            // 000000003E98: C0021400 00000190
	s_load_dword s7, s[0:1], 0x1b0                             // 000000003EA0: C00201C0 000001B0
	s_load_dword s81, s[0:1], 0x1c0                            // 000000003EA8: C0021440 000001C0
	s_load_dword s51, s[0:1], 0x1e0                            // 000000003EB0: C0020CC0 000001E0
	s_load_dword s82, s[0:1], 0x1f0                            // 000000003EB8: C0021480 000001F0
	s_load_dword s83, s[0:1], 0x210                            // 000000003EC0: C00214C0 00000210
	s_load_dword s53, s[0:1], 0x230                            // 000000003EC8: C0020D40 00000230
	s_load_dword s49, s[0:1], 0x240                            // 000000003ED0: C0020C40 00000240
	s_load_dwordx2 s[88:89], s[0:1], 0x250                     // 000000003ED8: C0061600 00000250
	s_load_dwordx2 s[92:93], s[0:1], 0x260                     // 000000003EE0: C0061700 00000260
	s_load_dwordx2 s[96:97], s[0:1], 0x270                     // 000000003EE8: C0061800 00000270
	s_load_dwordx2 s[100:101], s[0:1], 0x280                   // 000000003EF0: C0061900 00000280
	v_lshrrev_b32_e32 v1, 10, v0                               // 000000003EF8: 2002008A
	v_lshrrev_b32_e32 v2, 10, v1                               // 000000003EFC: 2004028A
	v_and_b32_e32 v2, 0x3ff, v2                                // 000000003F00: 260404FF 000003FF
	v_and_b32_e32 v1, 0x3ff, v1                                // 000000003F08: 260202FF 000003FF
	v_and_b32_e32 v0, 0x3ff, v0                                // 000000003F10: 260000FF 000003FF
	v_lshrrev_b32_e32 v3, 6, v0                                // 000000003F18: 20060086
	v_and_b32_e32 v0, 63, v0                                   // 000000003F1C: 260000BF
	s_mov_b32 s2, s2                                           // 000000003F20: BE820002
	s_mov_b32 s3, s3                                           // 000000003F24: BE830003
	s_mov_b32 s4, s4                                           // 000000003F28: BE840004
	v_readfirstlane_b32 s46, v3                                // 000000003F2C: 7E5C0503
	s_waitcnt lgkmcnt(0)                                       // 000000003F30: BF8CC07F
	s_mul_i32 s60, s4, 4                                       // 000000003F34: 923C8404
	s_add_u32 s88, s60, s88                                    // 000000003F38: 8058583C
	s_addc_u32 s89, 0, s89                                     // 000000003F3C: 82595980
	s_load_dwordx2 s[84:85], s[88:89], 0x0                     // 000000003F40: C006152C 00000000
	s_add_u32 s96, s60, s96                                    // 000000003F48: 8060603C
	s_addc_u32 s97, 0, s97                                     // 000000003F4C: 82616180
	s_load_dword s90, s[96:97], 0x0                            // 000000003F50: C00216B0 00000000
	s_add_u32 s92, s60, s92                                    // 000000003F58: 805C5C3C
	s_addc_u32 s93, 0, s93                                     // 000000003F5C: 825D5D80
	s_load_dwordx2 s[86:87], s[92:93], 0x0                     // 000000003F60: C00615AE 00000000
	s_add_u32 s100, s60, s100                                  // 000000003F68: 8064643C
	s_addc_u32 s101, 0, s101                                   // 000000003F6C: 82656580
	s_load_dword s94, s[100:101], 0x0                          // 000000003F70: C00217B2 00000000
	s_mov_b32 s11, 0x20000                                     // 000000003F78: BE8B00FF 00020000
	s_mov_b32 s15, 0x20000                                     // 000000003F80: BE8F00FF 00020000
	s_mov_b32 s19, 0x20000                                     // 000000003F88: BE9300FF 00020000
	s_mov_b32 s23, 0x20000                                     // 000000003F90: BE9700FF 00020000
	s_mov_b32 s27, 0x20000                                     // 000000003F98: BE9B00FF 00020000
	s_mov_b32 s31, 0x20000                                     // 000000003FA0: BE9F00FF 00020000
	s_mov_b32 s35, 0x20000                                     // 000000003FA8: BEA300FF 00020000
	s_mov_b32 s39, 0x20000                                     // 000000003FB0: BEA700FF 00020000
	s_mov_b32 s43, 0x20000                                     // 000000003FB8: BEAB00FF 00020000
	s_and_b32 s9, s9, 0xffff                                   // 000000003FC0: 8609FF09 0000FFFF
	s_and_b32 s13, s13, 0xffff                                 // 000000003FC8: 860DFF0D 0000FFFF
	s_and_b32 s17, s17, 0xffff                                 // 000000003FD0: 8611FF11 0000FFFF
	s_and_b32 s21, s21, 0xffff                                 // 000000003FD8: 8615FF15 0000FFFF
	s_and_b32 s25, s25, 0xffff                                 // 000000003FE0: 8619FF19 0000FFFF
	s_and_b32 s29, s29, 0xffff                                 // 000000003FE8: 861DFF1D 0000FFFF
	s_and_b32 s33, s33, 0xffff                                 // 000000003FF0: 8621FF21 0000FFFF
	s_and_b32 s37, s37, 0xffff                                 // 000000003FF8: 8625FF25 0000FFFF
	s_and_b32 s41, s41, 0xffff                                 // 000000004000: 8629FF29 0000FFFF
	s_or_b32 s9, s9, 0x40000                                   // 000000004008: 8709FF09 00040000
	s_or_b32 s13, s13, 0x40000                                 // 000000004010: 870DFF0D 00040000
	s_or_b32 s17, s17, 0x40000                                 // 000000004018: 8711FF11 00040000
	s_or_b32 s21, s21, 0x40000                                 // 000000004020: 8715FF15 00040000
	s_or_b32 s25, s25, 0x40000                                 // 000000004028: 8719FF19 00040000
	s_or_b32 s29, s29, 0x40000                                 // 000000004030: 871DFF1D 00040000
	s_or_b32 s33, s33, 0x40000                                 // 000000004038: 8721FF21 00040000
	s_or_b32 s37, s37, 0x40000                                 // 000000004040: 8725FF25 00040000
	s_or_b32 s41, s41, 0x40000                                 // 000000004048: 8729FF29 00040000
	v_accvgpr_write_b32 a255, 0                                // 000000004050: D3D940FF 18000080
	v_mov_b32_e32 v255, 0                                      // 000000004058: 7FFE0280
	s_mov_b32 s71, s3                                          // 00000000405C: BEC70003
	v_cvt_f32_u32_e32 v28, s44                                 // 000000004060: 7E380C2C
	s_sub_i32 s60, 0, s44                                      // 000000004064: 81BC2C80
	v_rcp_iflag_f32_e32 v28, v28                               // 000000004068: 7E38471C
	s_nop 0                                                    // 00000000406C: BF800000
	v_mul_f32_e32 v28, 0x4f7ffffe, v28                         // 000000004070: 0A3838FF 4F7FFFFE
	v_cvt_u32_f32_e32 v28, v28                                 // 000000004078: 7E380F1C
	v_mul_lo_u32 v29, s60, v28                                 // 00000000407C: D285001D 0002383C
	v_mul_hi_u32 v29, v28, v29                                 // 000000004084: D286001D 00023B1C
	v_add_u32_e32 v28, v28, v29                                // 00000000408C: 68383B1C
	v_mul_hi_u32 v28, s71, v28                                 // 000000004090: D286001C 00023847
	v_mul_lo_u32 v29, v28, s44                                 // 000000004098: D285001D 0000591C
	v_sub_u32_e32 v31, s71, v29                                // 0000000040A0: 6A3E3A47
	v_add_u32_e32 v30, 1, v28                                  // 0000000040A4: 683C3881
	v_cmp_le_u32_e32 vcc, s44, v31                             // 0000000040A8: 7D963E2C
	v_subrev_u32_e32 v29, s44, v31                             // 0000000040AC: 6C3A3E2C
	s_nop 0                                                    // 0000000040B0: BF800000
	v_cndmask_b32_e32 v28, v28, v30, vcc                       // 0000000040B4: 00383D1C
	v_cndmask_b32_e32 v31, v31, v29, vcc                       // 0000000040B8: 003E3B1F
	v_add_u32_e32 v29, 1, v28                                  // 0000000040BC: 683A3881
	v_cmp_le_u32_e32 vcc, s44, v31                             // 0000000040C0: 7D963E2C
	s_nop 1                                                    // 0000000040C4: BF800001
	v_cndmask_b32_e32 v31, v28, v29, vcc                       // 0000000040C8: 003E3B1C
	s_nop 3                                                    // 0000000040CC: BF800003
	v_readfirstlane_b32 s45, v31                               // 0000000040D0: 7E5A051F
	s_nop 3                                                    // 0000000040D4: BF800003
	s_waitcnt lgkmcnt(0)                                       // 0000000040D8: BF8CC07F
	s_mul_i32 s61, s2, 0x180                                   // 0000000040DC: 923DFF02 00000180
	s_sub_i32 s87, s87, s86                                    // 0000000040E4: 81D75657
	s_mov_b32 s86, s94                                         // 0000000040E8: BED6005E
	s_sub_i32 s85, s85, s84                                    // 0000000040EC: 81D55455
	s_mov_b32 s84, s90                                         // 0000000040F0: BED4005A
	s_cmp_gt_i32 s85, 0                                        // 0000000040F4: BF028055
	s_cbranch_scc0 label_24CC                                  // 0000000040F8: BF8423F9
	s_mov_b32 s59, 0                                           // 0000000040FC: BEBB0080
	s_mov_b32 s58, s85                                         // 000000004100: BEBA0055
	s_cmp_ge_i32 s61, s87                                      // 000000004104: BF03573D
	s_cbranch_scc1 label_24CC                                  // 000000004108: BF8523F5
	s_mul_i32 s61, s45, s79                                    // 00000000410C: 923D4F2D
	s_mov_b32 s54, s61                                         // 000000004110: BEB6003D
	s_add_u32 s12, s54, s12                                    // 000000004114: 800C0C36
	s_addc_u32 s13, 0, s13                                     // 000000004118: 820D0D80
	s_mul_i32 s60, s86, s6                                     // 00000000411C: 923C0656
	s_mul_hi_u32 s61, s86, s6                                  // 000000004120: 963D0656
	s_and_b32 s61, s61, 0xffff                                 // 000000004124: 863DFF3D 0000FFFF
	s_add_u32 s12, s12, s60                                    // 00000000412C: 800C3C0C
	s_addc_u32 s13, s13, s61                                   // 000000004130: 820D3D0D
	s_mul_i32 s61, s45, s80                                    // 000000004134: 923D502D
	s_mov_b32 s54, s61                                         // 000000004138: BEB6003D
	s_add_u32 s16, s54, s16                                    // 00000000413C: 80101036
	s_addc_u32 s17, 0, s17                                     // 000000004140: 82111180
	s_mul_i32 s60, s86, s7                                     // 000000004144: 923C0756
	s_mul_hi_u32 s61, s86, s7                                  // 000000004148: 963D0756
	s_and_b32 s61, s61, 0xffff                                 // 00000000414C: 863DFF3D 0000FFFF
	s_add_u32 s16, s16, s60                                    // 000000004154: 80103C10
	s_addc_u32 s17, s17, s61                                   // 000000004158: 82113D11
	s_mul_i32 s61, s3, s78                                     // 00000000415C: 923D4E03
	s_mov_b32 s55, s61                                         // 000000004160: BEB7003D
	s_add_u32 s8, s55, s8                                      // 000000004164: 80080837
	s_addc_u32 s9, 0, s9                                       // 000000004168: 82090980
	s_mul_i32 s60, s84, s5                                     // 00000000416C: 923C0554
	s_mul_hi_u32 s61, s84, s5                                  // 000000004170: 963D0554
	s_and_b32 s61, s61, 0xffff                                 // 000000004174: 863DFF3D 0000FFFF
	s_add_u32 s8, s8, s60                                      // 00000000417C: 80083C08
	s_addc_u32 s9, s9, s61                                     // 000000004180: 82093D09
	s_mul_i32 s61, s3, s81                                     // 000000004184: 923D5103
	s_mov_b32 s56, s61                                         // 000000004188: BEB8003D
	s_add_u32 s20, s56, s20                                    // 00000000418C: 80141438
	s_addc_u32 s21, 0, s21                                     // 000000004190: 82151580
	s_mul_i32 s60, s84, s51                                    // 000000004194: 923C3354
	s_mul_hi_u32 s61, s84, s51                                 // 000000004198: 963D3354
	s_and_b32 s61, s61, 0xffff                                 // 00000000419C: 863DFF3D 0000FFFF
	s_add_u32 s20, s20, s60                                    // 0000000041A4: 80143C14
	s_addc_u32 s21, s21, s61                                   // 0000000041A8: 82153D15
	s_mul_i32 s62, 4, s84                                      // 0000000041AC: 923E5484
	s_mul_i32 s61, s3, s49                                     // 0000000041B0: 923D3103
	s_add_u32 s65, s61, s62                                    // 0000000041B4: 80413E3D
	s_mov_b32 s26, s85                                         // 0000000041B8: BE9A0055
	s_mov_b32 s30, s85                                         // 0000000041BC: BE9E0055
	s_add_u32 s24, s65, s24                                    // 0000000041C0: 80181841
	s_addc_u32 s25, 0, s25                                     // 0000000041C4: 82191980
	s_add_u32 s28, s65, s28                                    // 0000000041C8: 801C1C41
	s_addc_u32 s29, 0, s29                                     // 0000000041CC: 821D1D80
	s_mul_i32 s61, s3, s82                                     // 0000000041D0: 923D5203
	s_mul_i32 s62, s86, s52                                    // 0000000041D4: 923E3456
	s_add_u32 s60, s61, s62                                    // 0000000041D8: 803C3E3D
	s_mul_hi_u32 s61, s86, s52                                 // 0000000041DC: 963D3456
	s_and_b32 s61, s61, 0xffff                                 // 0000000041E0: 863DFF3D 0000FFFF
	s_add_u32 s36, s60, s36                                    // 0000000041E8: 8024243C
	s_addc_u32 s37, s61, s37                                   // 0000000041EC: 8225253D
	s_mul_i32 s60, s87, s52                                    // 0000000041F0: 923C3457
	s_lshr_b32 s60, s60, 2                                     // 0000000041F4: 8F3C823C
	s_mov_b32 s38, s60                                         // 0000000041F8: BEA6003C
	s_mul_i32 s61, s3, s83                                     // 0000000041FC: 923D5303
	s_mul_i32 s62, s86, s53                                    // 000000004200: 923E3556
	s_add_u32 s60, s61, s62                                    // 000000004204: 803C3E3D
	s_mul_hi_u32 s61, s86, s53                                 // 000000004208: 963D3556
	s_and_b32 s61, s61, 0xffff                                 // 00000000420C: 863DFF3D 0000FFFF
	s_add_u32 s40, s60, s40                                    // 000000004214: 8028283C
	s_addc_u32 s41, s61, s41                                   // 000000004218: 8229293D
	s_mul_i32 s60, s87, s53                                    // 00000000421C: 923C3557
	s_lshr_b32 s60, s60, 2                                     // 000000004220: 8F3C823C
	s_mov_b32 s42, s60                                         // 000000004224: BEAA003C
	s_mul_i32 s60, s50, s65                                    // 000000004228: 923C4132
	s_mul_hi_u32 s62, s50, s65                                 // 00000000422C: 963E4132
	s_and_b32 s62, s62, 0xffff                                 // 000000004230: 863EFF3E 0000FFFF
	s_add_u32 s32, s60, s32                                    // 000000004238: 8020203C
	s_addc_u32 s33, s62, s33                                   // 00000000423C: 8221213E
	s_mul_i32 s60, s50, s85                                    // 000000004240: 923C5532
	s_lshl_b32 s60, s60, 2                                     // 000000004244: 8E3C823C
	s_mov_b32 s34, s60                                         // 000000004248: BEA2003C
	s_mov_b32 s90, s8                                          // 00000000424C: BEDA0008
	s_mov_b32 s94, s12                                         // 000000004250: BEDE000C
	s_mov_b32 s96, s16                                         // 000000004254: BEE00010
	s_mov_b32 s98, s20                                         // 000000004258: BEE20014
	s_mov_b32 s91, s9                                          // 00000000425C: BEDB0009
	s_mov_b32 s95, s13                                         // 000000004260: BEDF000D
	s_mov_b32 s97, s17                                         // 000000004264: BEE10011
	s_mov_b32 s99, s21                                         // 000000004268: BEE30015
	s_add_u32 s71, 0xbf, s87                                   // 00000000426C: 804757FF 000000BF
	s_mov_b32 s74, 0xc0                                        // 000000004274: BECA00FF 000000C0
	v_cvt_f32_u32_e32 v28, s74                                 // 00000000427C: 7E380C4A
	s_sub_i32 s60, 0, s74                                      // 000000004280: 81BC4A80
	v_rcp_iflag_f32_e32 v28, v28                               // 000000004284: 7E38471C
	s_nop 0                                                    // 000000004288: BF800000
	v_mul_f32_e32 v28, 0x4f7ffffe, v28                         // 00000000428C: 0A3838FF 4F7FFFFE
	v_cvt_u32_f32_e32 v28, v28                                 // 000000004294: 7E380F1C
	v_mul_lo_u32 v29, s60, v28                                 // 000000004298: D285001D 0002383C
	v_mul_hi_u32 v29, v28, v29                                 // 0000000042A0: D286001D 00023B1C
	v_add_u32_e32 v28, v28, v29                                // 0000000042A8: 68383B1C
	v_mul_hi_u32 v28, s71, v28                                 // 0000000042AC: D286001C 00023847
	v_mul_lo_u32 v29, v28, s74                                 // 0000000042B4: D285001D 0000951C
	v_sub_u32_e32 v31, s71, v29                                // 0000000042BC: 6A3E3A47
	v_add_u32_e32 v30, 1, v28                                  // 0000000042C0: 683C3881
	v_cmp_le_u32_e32 vcc, s74, v31                             // 0000000042C4: 7D963E4A
	v_subrev_u32_e32 v29, s74, v31                             // 0000000042C8: 6C3A3E4A
	s_nop 0                                                    // 0000000042CC: BF800000
	v_cndmask_b32_e32 v28, v28, v30, vcc                       // 0000000042D0: 00383D1C
	v_cndmask_b32_e32 v31, v31, v29, vcc                       // 0000000042D4: 003E3B1F
	v_add_u32_e32 v29, 1, v28                                  // 0000000042D8: 683A3881
	v_cmp_le_u32_e32 vcc, s74, v31                             // 0000000042DC: 7D963E4A
	s_nop 1                                                    // 0000000042E0: BF800001
	v_cndmask_b32_e32 v31, v28, v29, vcc                       // 0000000042E4: 003E3B1C
	s_nop 3                                                    // 0000000042E8: BF800003
	v_readfirstlane_b32 s77, v31                               // 0000000042EC: 7E9A051F
	s_nop 3                                                    // 0000000042F0: BF800003
	v_mov_b32_e32 v28, s47                                     // 0000000042F4: 7E38022F
	v_mul_f32_e32 v28, s48, v28                                // 0000000042F8: 0A383830
	s_mov_b32 s63, 0x5040100                                   // 0000000042FC: BEBF00FF 05040100
	s_mov_b32 s64, 0x7060302                                   // 000000004304: BEC000FF 07060302
	v_readfirstlane_b32 s57, v28                               // 00000000430C: 7E72051C
	v_mov_b32_e32 v30, 0x3020706                               // 000000004310: 7E3C02FF 03020706
	v_mov_b32_e32 v28, s63                                     // 000000004318: 7E38023F
	v_and_b32_e32 v29, 1, v0                                   // 00000000431C: 263A0081
	v_cmp_eq_u32_e32 vcc, 1, v29                               // 000000004320: 7D943A81
	s_mul_i32 s60, s50, 64                                     // 000000004324: 923CC032
	s_mov_b32 s67, s60                                         // 000000004328: BEC3003C
	v_cndmask_b32_e32 v15, v28, v30, vcc                       // 00000000432C: 001E3D1C
	v_mov_b32_e32 v249, 0xffff0000                             // 000000004330: 7FF202FF FFFF0000
	v_mov_b32_e32 v250, 0x7fff0000                             // 000000004338: 7FF402FF 7FFF0000
	v_mov_b32_e32 v251, 0x7fff                                 // 000000004340: 7FF602FF 00007FFF
	s_cmp_lt_u32 s46, 2                                        // 000000004348: BF0A822E
	s_cselect_b32 s24, s24, s28                                // 00000000434C: 85181C18
	s_cselect_b32 s25, s25, s29                                // 000000004350: 85191D19
	s_cselect_b32 s26, s26, s30                                // 000000004354: 851A1E1A
	s_cselect_b32 s27, s27, s31                                // 000000004358: 851B1F1B
	s_lshr_b32 s60, s46, 1                                     // 00000000435C: 8F3C812E
	s_lshl_b32 s60, s60, 8                                     // 000000004360: 8E3C883C
	s_add_u32 s80, 0xc600, s60                                 // 000000004364: 80503CFF 0000C600
	s_add_u32 s81, 0x200, s80                                  // 00000000436C: 805150FF 00000200
	s_mov_b32 s75, 0                                           // 000000004374: BECB0080
	s_mov_b32 s76, 1                                           // 000000004378: BECC0081
	s_lshl_b32 s60, s2, 1                                      // 00000000437C: 8E3C8102
	s_add_u32 s60, 1, s60                                      // 000000004380: 803C3C81
	s_cmp_ge_i32 s60, s77                                      // 000000004384: BF034D3C
	s_cselect_b32 s76, s76, 2                                  // 000000004388: 854C824C

000000000000438c <label_0163>:
	v_lshrrev_b32_e32 v28, 2, v0                               // 00000000438C: 20380082
	v_and_b32_e32 v29, 3, v28                                  // 000000004390: 263A3883
	v_lshrrev_b32_e32 v30, 3, v28                              // 000000004394: 203C3883
	v_lshlrev_b32_e32 v30, 2, v30                              // 000000004398: 243C3C82
	v_add_u32_e32 v28, v30, v29                                // 00000000439C: 68383B1E
	s_lshr_b32 s60, s46, 1                                     // 0000000043A0: 8F3C812E
	s_sub_i32 s60, 1, s60                                      // 0000000043A4: 81BC3C81
	v_mul_i32_i24_e64 v29, s60, 8                              // 0000000043A8: D106001D 0001103C
	v_mov_b32_e32 v30, s50                                     // 0000000043B0: 7E3C0232
	v_sub_u32_e64 v30, v30, 64                                 // 0000000043B4: D135001E 0001811E
	v_lshrrev_b32_e32 v30, 3, v30                              // 0000000043BC: 203C3C83
	v_add_u32_e32 v29, v30, v29                                // 0000000043C0: 683A3B1E
	v_cmp_lt_u32_e64 s[82:83], v28, v29                        // 0000000043C4: D0C90052 00023B1C
	s_mov_b32 m0, s80                                          // 0000000043CC: BEFC0050
	s_mov_b32 s66, 0                                           // 0000000043D0: BEC20080
	v_mov_b32_e32 v151, 0xff800000                             // 0000000043D4: 7F2E02FF FF800000
	s_mov_b32 s74, 0                                           // 0000000043DC: BECA0080
	s_mul_i32 s68, 4, s5                                       // 0000000043E0: 92440584
	s_mul_i32 s100, 4, s51                                     // 0000000043E4: 92643384
	s_mov_b32 s69, 16                                          // 0000000043E8: BEC50090
	s_mul_i32 s59, 0xc0, s2                                    // 0000000043EC: 923B02FF 000000C0
	s_mul_i32 s54, s6, s59                                     // 0000000043F4: 92363B06
	s_sub_i32 s61, s87, s59                                    // 0000000043F8: 81BD3B57
	s_mul_i32 s62, s6, s61                                     // 0000000043FC: 923E3D06
	s_lshr_b32 s62, s62, 2                                     // 000000004400: 8F3E823E
	s_mov_b32 s14, s62                                         // 000000004404: BE8E003E
	s_add_u32 s12, s54, s94                                    // 000000004408: 800C5E36
	s_addc_u32 s13, 0, s95                                     // 00000000440C: 820D5F80
	s_mul_i32 s54, s7, s59                                     // 000000004410: 92363B07
	s_mul_i32 s62, s7, s61                                     // 000000004414: 923E3D07
	s_lshr_b32 s62, s62, 2                                     // 000000004418: 8F3E823E
	s_mov_b32 s18, s62                                         // 00000000441C: BE92003E
	s_add_u32 s16, s54, s96                                    // 000000004420: 80106036
	s_addc_u32 s17, 0, s97                                     // 000000004424: 82116180
	s_mov_b32 s71, s6                                          // 000000004428: BEC70006
	v_lshrrev_b32_e32 v28, 4, v0                               // 00000000442C: 20380084
	v_and_b32_e32 v29, 1, v28                                  // 000000004430: 263A3881
	v_lshlrev_b32_e32 v29, 1, v29                              // 000000004434: 243A3A81
	v_mul_i32_i24_e32 v29, s71, v29                            // 000000004438: 0C3A3A47
	v_and_b32_e32 v30, 2, v28                                  // 00000000443C: 263C3882
	v_lshlrev_b32_e32 v30, 5, v30                              // 000000004440: 243C3C85
	v_add_u32_e32 v29, v30, v29                                // 000000004444: 683A3B1E
	v_and_b32_e32 v28, 15, v0                                  // 000000004448: 2638008F
	v_lshlrev_b32_e32 v28, 2, v28                              // 00000000444C: 24383882
	v_add_u32_e32 v1, v28, v29                                 // 000000004450: 68023B1C
	s_and_b32 s60, 1, s46                                      // 000000004454: 863C2E81
	s_mul_i32 s60, s60, s71                                    // 000000004458: 923C473C
	s_mul_i32 s60, s60, 8                                      // 00000000445C: 923C883C
	s_lshr_b32 s61, s46, 1                                     // 000000004460: 8F3D812E
	s_mul_i32 s61, s61, 0x80                                   // 000000004464: 923DFF3D 00000080
	s_add_u32 s60, s60, s61                                    // 00000000446C: 803C3D3C
	v_add_u32_e32 v1, s60, v1                                  // 000000004470: 6802023C
	v_add_u32_e32 v2, s71, v1                                  // 000000004474: 68040247
	s_mul_i32 s60, 4, s71                                      // 000000004478: 923C4784
	v_add_u32_e32 v3, s60, v1                                  // 00000000447C: 6806023C
	v_add_u32_e32 v4, s60, v2                                  // 000000004480: 6808043C
	s_mov_b32 s71, s7                                          // 000000004484: BEC70007
	v_lshrrev_b32_e32 v28, 4, v0                               // 000000004488: 20380084
	v_and_b32_e32 v29, 1, v28                                  // 00000000448C: 263A3881
	v_lshlrev_b32_e32 v29, 1, v29                              // 000000004490: 243A3A81
	v_mul_i32_i24_e32 v29, s71, v29                            // 000000004494: 0C3A3A47
	v_and_b32_e32 v30, 2, v28                                  // 000000004498: 263C3882
	v_lshlrev_b32_e32 v30, 5, v30                              // 00000000449C: 243C3C85
	v_add_u32_e32 v29, v30, v29                                // 0000000044A0: 683A3B1E
	v_and_b32_e32 v28, 15, v0                                  // 0000000044A4: 2638008F
	v_lshlrev_b32_e32 v28, 2, v28                              // 0000000044A8: 24383882
	v_add_u32_e32 v252, v28, v29                               // 0000000044AC: 69F83B1C
	s_and_b32 s60, 1, s46                                      // 0000000044B0: 863C2E81
	s_mul_i32 s60, s60, s71                                    // 0000000044B4: 923C473C
	s_mul_i32 s60, s60, 8                                      // 0000000044B8: 923C883C
	s_lshr_b32 s61, s46, 1                                     // 0000000044BC: 8F3D812E
	s_mul_i32 s61, s61, 0x80                                   // 0000000044C0: 923DFF3D 00000080
	s_add_u32 s60, s60, s61                                    // 0000000044C8: 803C3D3C
	v_add_u32_e32 v252, s60, v252                              // 0000000044CC: 69F9F83C
	v_add_u32_e32 v253, s71, v252                              // 0000000044D0: 69FBF847
	s_mul_i32 s60, 4, s71                                      // 0000000044D4: 923C4784
	v_add_u32_e32 v254, s60, v252                              // 0000000044D8: 69FDF83C
	v_add_u32_e32 v255, s60, v253                              // 0000000044DC: 69FFFA3C
	v_lshrrev_b32_e32 v1, 2, v1                                // 0000000044E0: 20020282
	v_lshrrev_b32_e32 v2, 2, v2                                // 0000000044E4: 20040482
	v_lshrrev_b32_e32 v3, 2, v3                                // 0000000044E8: 20060682
	v_lshrrev_b32_e32 v4, 2, v4                                // 0000000044EC: 20080882
	v_lshrrev_b32_e32 v252, 2, v252                            // 0000000044F0: 21F9F882
	v_lshrrev_b32_e32 v253, 2, v253                            // 0000000044F4: 21FBFA82
	v_lshrrev_b32_e32 v254, 2, v254                            // 0000000044F8: 21FDFC82
	v_lshrrev_b32_e32 v255, 2, v255                            // 0000000044FC: 21FFFE82
	s_mov_b32 s70, s52                                         // 000000004500: BEC60034
	v_lshrrev_b32_e32 v28, 4, v0                               // 000000004504: 20380084
	v_mul_i32_i24_e32 v5, s70, v28                             // 000000004508: 0C0A3846
	v_lshrrev_b32_e32 v5, 2, v5                                // 00000000450C: 200A0A82
	v_and_b32_e32 v28, 15, v0                                  // 000000004510: 2638008F
	v_lshlrev_b32_e32 v29, 2, v28                              // 000000004514: 243A3882
	v_add_u32_e32 v5, v29, v5                                  // 000000004518: 680A0B1D
	s_mul_i32 s60, 16, s70                                     // 00000000451C: 923C4690
	s_mul_i32 s60, s46, s60                                    // 000000004520: 923C3C2E
	v_lshlrev_b32_e32 v5, 2, v5                                // 000000004524: 240A0A82
	v_add_u32_e32 v5, s60, v5                                  // 000000004528: 680A0A3C
	s_mul_i32 s60, s52, s59                                    // 00000000452C: 923C3B34
	v_add_u32_e32 v5, s60, v5                                  // 000000004530: 680A0A3C
	v_lshrrev_b32_e32 v5, 2, v5                                // 000000004534: 200A0A82
	s_mov_b32 s70, s53                                         // 000000004538: BEC60035
	v_lshrrev_b32_e32 v28, 4, v0                               // 00000000453C: 20380084
	v_mul_i32_i24_e32 v6, s70, v28                             // 000000004540: 0C0C3846
	v_lshrrev_b32_e32 v6, 2, v6                                // 000000004544: 200C0C82
	v_and_b32_e32 v28, 15, v0                                  // 000000004548: 2638008F
	v_lshlrev_b32_e32 v29, 2, v28                              // 00000000454C: 243A3882
	v_add_u32_e32 v6, v29, v6                                  // 000000004550: 680C0D1D
	s_mul_i32 s60, 16, s70                                     // 000000004554: 923C4690
	s_mul_i32 s60, s46, s60                                    // 000000004558: 923C3C2E
	v_lshlrev_b32_e32 v6, 2, v6                                // 00000000455C: 240C0C82
	v_add_u32_e32 v6, s60, v6                                  // 000000004560: 680C0C3C
	s_mul_i32 s60, s53, s59                                    // 000000004564: 923C3B35
	v_add_u32_e32 v6, s60, v6                                  // 000000004568: 680C0C3C
	v_lshrrev_b32_e32 v6, 2, v6                                // 00000000456C: 200C0C82
	s_cmp_ge_i32 s59, s85                                      // 000000004570: BF03553B
	s_cselect_b32 s59, s85, s59                                // 000000004574: 853B3B55
	s_add_u32 s73, 16, s59                                     // 000000004578: 80493B90
	s_mul_i32 s55, s5, s59                                     // 00000000457C: 92373B05
	s_sub_i32 s61, s85, s59                                    // 000000004580: 81BD3B55
	s_mul_i32 s62, s5, s61                                     // 000000004584: 923E3D05
	s_lshr_b32 s62, s62, 2                                     // 000000004588: 8F3E823E
	s_mov_b32 s10, s62                                         // 00000000458C: BE8A003E
	s_add_u32 s8, s55, s90                                     // 000000004590: 80085A37
	s_addc_u32 s9, 0, s91                                      // 000000004594: 82095B80
	s_mul_i32 s56, s51, s59                                    // 000000004598: 92383B33
	s_mul_i32 s62, s51, s61                                    // 00000000459C: 923E3D33
	s_lshr_b32 s62, s62, 2                                     // 0000000045A0: 8F3E823E
	s_mov_b32 s22, s62                                         // 0000000045A4: BE96003E
	s_add_u32 s20, s56, s98                                    // 0000000045A8: 80146238
	s_addc_u32 s21, 0, s99                                     // 0000000045AC: 82156380
	s_mul_i32 s65, s59, 4                                      // 0000000045B0: 9241843B
	v_and_b32_e32 v9, 15, v0                                   // 0000000045B4: 2612008F
	v_lshlrev_b32_e32 v9, 2, v9                                // 0000000045B8: 24121282
	v_add_u32_e32 v9, s65, v9                                  // 0000000045BC: 68121241
	v_lshrrev_b32_e32 v9, 2, v9                                // 0000000045C0: 20121282
	v_lshrrev_b32_e32 v28, 5, v0                               // 0000000045C4: 20380085
	v_mul_i32_i24_e64 v29, s50, 2                              // 0000000045C8: D106001D 00010432
	v_mul_i32_i24_e32 v7, v29, v28                             // 0000000045D0: 0C0E391D
	v_and_b32_e32 v28, 31, v0                                  // 0000000045D4: 2638009F
	v_add_u32_e32 v7, v28, v7                                  // 0000000045D8: 680E0F1C
	s_mul_i32 s60, 4, s50                                      // 0000000045DC: 923C3284
	s_mul_i32 s60, s46, s60                                    // 0000000045E0: 923C3C2E
	v_add_u32_e32 v7, s60, v7                                  // 0000000045E4: 680E0E3C
	v_lshlrev_b32_e32 v7, 2, v7                                // 0000000045E8: 240E0E82
	v_mul_i32_i24_e32 v29, 2, v29                              // 0000000045EC: 0C3A3A82
	v_add_u32_e32 v8, v29, v7                                  // 0000000045F0: 68100F1D
	s_mul_i32 s60, s50, s65                                    // 0000000045F4: 923C4132
	v_add_u32_e32 v7, s60, v7                                  // 0000000045F8: 680E0E3C
	v_add_u32_e32 v8, s60, v8                                  // 0000000045FC: 6810103C
	s_mul_i32 s60, 3, s2                                       // 000000004600: 923C0283
	s_add_u32 s61, s87, 63                                     // 000000004604: 803DBF57
	s_lshr_b32 s61, s61, 6                                     // 000000004608: 8F3D863D
	s_sub_i32 s72, s61, s60                                    // 00000000460C: 81C83C3D
	s_cmp_lt_i32 s72, 3                                        // 000000004610: BF048348
	s_cselect_b32 s72, s72, 3                                  // 000000004614: 85488348
	s_mul_i32 s60, 0xc0, s2                                    // 000000004618: 923C02FF 000000C0
	s_sub_i32 s84, s87, s60                                    // 000000004620: 81D43C57
	v_and_b32_e32 v28, 31, v0                                  // 000000004624: 2638009F
	v_lshrrev_b32_e32 v28, 1, v28                              // 000000004628: 20383881
	v_and_b32_e32 v29, 1, v28                                  // 00000000462C: 263A3881
	v_lshlrev_b32_e32 v29, 4, v29                              // 000000004630: 243A3A84
	v_and_b32_e32 v30, 2, v28                                  // 000000004634: 263C3882
	v_lshlrev_b32_e32 v30, 2, v30                              // 000000004638: 243C3C82
	v_add_u32_e32 v29, v30, v29                                // 00000000463C: 683A3B1E
	v_and_b32_e32 v30, 12, v28                                 // 000000004640: 263C388C
	v_lshrrev_b32_e32 v30, 1, v30                              // 000000004644: 203C3C81
	v_add_u32_e32 v29, v30, v29                                // 000000004648: 683A3B1E
	v_lshrrev_b32_e32 v28, 5, v0                               // 00000000464C: 20380085
	v_mul_i32_i24_e32 v30, 0x80, v28                           // 000000004650: 0C3C38FF 00000080
	v_add_u32_e32 v29, v30, v29                                // 000000004658: 683A3B1E
	v_and_b32_e32 v30, 1, v0                                   // 00000000465C: 263C0081
	v_add_u32_e32 v11, v30, v29                                // 000000004660: 68163B1E
	s_and_b32 s60, 1, s46                                      // 000000004664: 863C2E81
	s_mul_i32 s60, s60, 64                                     // 000000004668: 923CC03C
	s_lshr_b32 s61, s46, 1                                     // 00000000466C: 8F3D812E
	s_mul_i32 s61, s61, 0x220                                  // 000000004670: 923DFF3D 00000220
	s_add_u32 s60, s60, s61                                    // 000000004678: 803C3D3C
	v_add_u32_e32 v11, s60, v11                                // 00000000467C: 6816163C
	v_lshlrev_b32_e32 v11, 2, v11                              // 000000004680: 24161682
	v_lshrrev_b32_e32 v28, 4, v0                               // 000000004684: 20380084
	v_and_b32_e32 v29, 1, v28                                  // 000000004688: 263A3881
	v_lshlrev_b32_e32 v29, 4, v29                              // 00000000468C: 243A3A84
	v_and_b32_e32 v30, 2, v28                                  // 000000004690: 263C3882
	v_mul_i32_i24_e32 v30, 4, v30                              // 000000004694: 0C3C3C84
	v_add_u32_e32 v29, v30, v29                                // 000000004698: 683A3B1E
	v_and_b32_e32 v28, 15, v0                                  // 00000000469C: 2638008F
	v_lshrrev_b32_e32 v30, 2, v28                              // 0000000046A0: 203C3882
	v_lshlrev_b32_e32 v30, 5, v30                              // 0000000046A4: 243C3C85
	v_add_u32_e32 v29, v30, v29                                // 0000000046A8: 683A3B1E
	v_and_b32_e32 v28, 3, v0                                   // 0000000046AC: 26380083
	v_and_b32_e32 v30, 1, v28                                  // 0000000046B0: 263C3881
	v_mul_i32_i24_e32 v30, 0x108, v30                          // 0000000046B4: 0C3C3CFF 00000108
	v_add_u32_e32 v29, v30, v29                                // 0000000046BC: 683A3B1E
	v_and_b32_e32 v30, 2, v28                                  // 0000000046C0: 263C3882
	v_lshlrev_b32_e32 v30, 1, v30                              // 0000000046C4: 243C3C81
	v_add_u32_e32 v10, v30, v29                                // 0000000046C8: 68143B1E
	v_lshlrev_b32_e32 v10, 2, v10                              // 0000000046CC: 24141482
	s_mul_i32 s60, s46, 0x1100                                 // 0000000046D0: 923CFF2E 00001100
	v_add_u32_e32 v22, s60, v10                                // 0000000046D8: 682C143C
	v_lshrrev_b32_e32 v28, 5, v0                               // 0000000046DC: 20380085
	v_mul_i32_i24_e32 v13, 0x80, v28                           // 0000000046E0: 0C1A38FF 00000080
	v_and_b32_e32 v28, 31, v0                                  // 0000000046E8: 2638009F
	v_and_b32_e32 v29, 7, v28                                  // 0000000046EC: 263A3887
	v_and_b32_e32 v30, 1, v29                                  // 0000000046F0: 263C3A81
	v_lshlrev_b32_e32 v30, 2, v30                              // 0000000046F4: 243C3C82
	v_add_u32_e32 v13, v30, v13                                // 0000000046F8: 681A1B1E
	v_and_b32_e32 v30, 2, v29                                  // 0000000046FC: 263C3A82
	v_lshlrev_b32_e32 v30, 3, v30                              // 000000004700: 243C3C83
	v_add_u32_e32 v13, v30, v13                                // 000000004704: 681A1B1E
	v_and_b32_e32 v30, 4, v29                                  // 000000004708: 263C3A84
	v_lshlrev_b32_e32 v30, 1, v30                              // 00000000470C: 243C3C81
	v_add_u32_e32 v13, v30, v13                                // 000000004710: 681A1B1E
	v_lshrrev_b32_e32 v29, 3, v28                              // 000000004714: 203A3883
	v_and_b32_e32 v30, 1, v29                                  // 000000004718: 263C3A81
	v_lshlrev_b32_e32 v30, 1, v30                              // 00000000471C: 243C3C81
	v_add_u32_e32 v13, v30, v13                                // 000000004720: 681A1B1E
	v_and_b32_e32 v30, 2, v29                                  // 000000004724: 263C3A82
	v_lshrrev_b32_e32 v30, 1, v30                              // 000000004728: 203C3C81
	v_add_u32_e32 v13, v30, v13                                // 00000000472C: 681A1B1E
	s_and_b32 s60, 1, s46                                      // 000000004730: 863C2E81
	s_mul_i32 s60, s60, 64                                     // 000000004734: 923CC03C
	s_lshr_b32 s61, s46, 1                                     // 000000004738: 8F3D812E
	s_mul_i32 s61, s61, 0x220                                  // 00000000473C: 923DFF3D 00000220
	s_add_u32 s60, s60, s61                                    // 000000004744: 803C3D3C
	v_add_u32_e32 v13, s60, v13                                // 000000004748: 681A1A3C
	v_lshlrev_b32_e32 v13, 2, v13                              // 00000000474C: 241A1A82
	v_and_b32_e32 v28, 15, v0                                  // 000000004750: 2638008F
	v_and_b32_e32 v30, 1, v28                                  // 000000004754: 263C3881
	v_mul_i32_i24_e32 v12, 0x108, v30                          // 000000004758: 0C183CFF 00000108
	v_and_b32_e32 v30, 2, v28                                  // 000000004760: 263C3882
	v_lshlrev_b32_e32 v30, 1, v30                              // 000000004764: 243C3C81
	v_add_u32_e32 v12, v30, v12                                // 000000004768: 6818191E
	v_and_b32_e32 v30, 4, v28                                  // 00000000476C: 263C3884
	v_lshlrev_b32_e32 v30, 2, v30                              // 000000004770: 243C3C82
	v_add_u32_e32 v12, v30, v12                                // 000000004774: 6818191E
	v_and_b32_e32 v30, 8, v28                                  // 000000004778: 263C3888
	v_add_u32_e32 v12, v30, v12                                // 00000000477C: 6818191E
	v_lshrrev_b32_e32 v28, 4, v0                               // 000000004780: 20380084
	v_and_b32_e32 v30, 1, v28                                  // 000000004784: 263C3881
	v_lshlrev_b32_e32 v30, 5, v30                              // 000000004788: 243C3C85
	v_add_u32_e32 v12, v30, v12                                // 00000000478C: 6818191E
	v_and_b32_e32 v29, 2, v28                                  // 000000004790: 263A3882
	v_mul_i32_i24_e32 v30, 32, v29                             // 000000004794: 0C3C3AA0
	v_mul_i32_i24_e32 v29, 0x220, v29                          // 000000004798: 0C3A3AFF 00000220
	v_add_u32_e32 v23, v29, v12                                // 0000000047A0: 682E191D
	v_add_u32_e32 v12, v30, v12                                // 0000000047A4: 6818191E
	v_lshlrev_b32_e32 v12, 2, v12                              // 0000000047A8: 24181882
	v_lshlrev_b32_e32 v23, 2, v23                              // 0000000047AC: 242E2E82
	s_and_b32 s60, 1, s46                                      // 0000000047B0: 863C2E81
	s_mul_i32 s60, s60, 0x200                                  // 0000000047B4: 923CFF3C 00000200
	s_lshr_b32 s61, s46, 1                                     // 0000000047BC: 8F3D812E
	s_mul_i32 s61, s61, 0x880                                  // 0000000047C0: 923DFF3D 00000880
	s_add_u32 s60, s60, s61                                    // 0000000047C8: 803C3D3C
	v_add_u32_e32 v23, s60, v23                                // 0000000047CC: 682E2E3C
	v_lshrrev_b32_e32 v28, 4, v0                               // 0000000047D0: 20380084
	v_mul_i32_i24_e32 v21, 4, v28                              // 0000000047D4: 0C2A3884
	v_and_b32_e32 v29, 3, v0                                   // 0000000047D8: 263A0083
	v_add_u32_e32 v21, v29, v21                                // 0000000047DC: 682A2B1D
	v_lshlrev_b32_e32 v21, 2, v21                              // 0000000047E0: 242A2A82
	v_lshrrev_b32_e32 v28, 4, v0                               // 0000000047E4: 20380084
	v_and_b32_e32 v29, 1, v28                                  // 0000000047E8: 263A3881
	v_mul_i32_i24_e32 v19, 0x100, v29                          // 0000000047EC: 0C263AFF 00000100
	v_and_b32_e32 v29, 2, v28                                  // 0000000047F4: 263A3882
	v_mul_i32_i24_e32 v29, 64, v29                             // 0000000047F8: 0C3A3AC0
	v_add_u32_e32 v19, v29, v19                                // 0000000047FC: 6826271D
	v_and_b32_e32 v28, 15, v0                                  // 000000004800: 2638008F
	v_mul_i32_i24_e32 v29, 2, v28                              // 000000004804: 0C3A3882
	v_add_u32_e32 v19, v29, v19                                // 000000004808: 6826271D
	s_mul_i32 s60, s46, 32                                     // 00000000480C: 923CA02E
	v_add_u32_e32 v19, s60, v19                                // 000000004810: 6826263C
	v_lshlrev_b32_e32 v19, 2, v19                              // 000000004814: 24262682
	v_lshlrev_b32_e32 v20, 1, v0                               // 000000004818: 24280081
	s_mul_i32 s60, s46, 0x200                                  // 00000000481C: 923CFF2E 00000200
	v_add_u32_e32 v20, s60, v20                                // 000000004824: 6828283C
	v_lshlrev_b32_e32 v20, 2, v20                              // 000000004828: 24282882
	v_lshrrev_b32_e32 v28, 5, v0                               // 00000000482C: 20380085
	v_mul_i32_i24_e32 v17, 64, v28                             // 000000004830: 0C2238C0
	v_and_b32_e32 v28, 31, v0                                  // 000000004834: 2638009F
	v_and_b32_e32 v28, 3, v28                                  // 000000004838: 26383883
	v_and_b32_e32 v29, 1, v28                                  // 00000000483C: 263A3881
	v_mul_i32_i24_e32 v29, 4, v29                              // 000000004840: 0C3A3A84
	v_add_u32_e32 v17, v29, v17                                // 000000004844: 6822231D
	v_and_b32_e32 v29, 2, v28                                  // 000000004848: 263A3882
	v_mul_i32_i24_e32 v29, 0x44, v29                           // 00000000484C: 0C3A3AFF 00000044
	v_add_u32_e32 v17, v29, v17                                // 000000004854: 6822231D
	v_and_b32_e32 v28, 31, v0                                  // 000000004858: 2638009F
	v_lshrrev_b32_e32 v28, 2, v28                              // 00000000485C: 20383882
	v_lshrrev_b32_e32 v30, 2, v28                              // 000000004860: 203C3882
	v_mul_i32_i24_e32 v29, 16, v30                             // 000000004864: 0C3A3C90
	v_add_u32_e32 v17, v29, v17                                // 000000004868: 6822231D
	v_and_b32_e32 v29, 2, v28                                  // 00000000486C: 263A3882
	v_lshlrev_b32_e32 v29, 4, v29                              // 000000004870: 243A3A84
	v_add_u32_e32 v17, v29, v17                                // 000000004874: 6822231D
	v_and_b32_e32 v29, 1, v28                                  // 000000004878: 263A3881
	v_xor_b32_e32 v29, v30, v29                                // 00000000487C: 2A3A3B1E
	v_mul_i32_i24_e32 v29, 8, v29                              // 000000004880: 0C3A3A88
	v_add_u32_e32 v17, v29, v17                                // 000000004884: 6822231D
	v_lshlrev_b32_e32 v17, 2, v17                              // 000000004888: 24222282
	v_lshrrev_b32_e32 v28, 5, v0                               // 00000000488C: 20380085
	v_mul_i32_i24_e32 v18, 32, v28                             // 000000004890: 0C2438A0
	v_and_b32_e32 v28, 31, v0                                  // 000000004894: 2638009F
	v_and_b32_e32 v28, 3, v28                                  // 000000004898: 26383883
	v_and_b32_e32 v29, 1, v28                                  // 00000000489C: 263A3881
	v_mul_i32_i24_e32 v29, 4, v29                              // 0000000048A0: 0C3A3A84
	v_add_u32_e32 v18, v29, v18                                // 0000000048A4: 6824251D
	v_and_b32_e32 v29, 2, v28                                  // 0000000048A8: 263A3882
	v_lshrrev_b32_e32 v29, 1, v29                              // 0000000048AC: 203A3A81
	v_add_u32_e32 v18, v29, v18                                // 0000000048B0: 6824251D
	v_and_b32_e32 v28, 31, v0                                  // 0000000048B4: 2638009F
	v_lshrrev_b32_e32 v28, 2, v28                              // 0000000048B8: 20383882
	v_and_b32_e32 v30, 1, v28                                  // 0000000048BC: 263C3881
	v_mul_i32_i24_e32 v29, 16, v30                             // 0000000048C0: 0C3A3C90
	v_add_u32_e32 v18, v29, v18                                // 0000000048C4: 6824251D
	v_and_b32_e32 v29, 2, v28                                  // 0000000048C8: 263A3882
	v_add_u32_e32 v18, v29, v18                                // 0000000048CC: 6824251D
	v_lshrrev_b32_e32 v29, 2, v28                              // 0000000048D0: 203A3882
	v_xor_b32_e32 v29, v30, v29                                // 0000000048D4: 2A3A3B1E
	v_mul_i32_i24_e32 v29, 8, v29                              // 0000000048D8: 0C3A3A88
	v_add_u32_e32 v18, v29, v18                                // 0000000048DC: 6824251D
	s_and_b32 s60, 1, s46                                      // 0000000048E0: 863C2E81
	s_mul_i32 s60, s60, 64                                     // 0000000048E4: 923CC03C
	s_lshr_b32 s61, s46, 1                                     // 0000000048E8: 8F3D812E
	s_mul_i32 s61, s61, 0x120                                  // 0000000048EC: 923DFF3D 00000120
	s_add_u32 s60, s60, s61                                    // 0000000048F4: 803C3D3C
	v_add_u32_e32 v18, s60, v18                                // 0000000048F8: 6824243C
	v_lshlrev_b32_e32 v18, 2, v18                              // 0000000048FC: 24242482
	v_mov_b32_e32 v152, 0                                      // 000000004900: 7F300280
	s_mov_b64 exec, s[82:83]                                   // 000000004904: BEFE0152
	buffer_load_dword v152, v1, s[12:15], 0 idxen              // 000000004908: E0502000 80039801
	s_mov_b32 exec_lo, -1                                      // 000000004910: BEFE00C1
	s_mov_b32 exec_hi, -1                                      // 000000004914: BEFF00C1
	v_mov_b32_e32 v153, 0                                      // 000000004918: 7F320280
	s_mov_b64 exec, s[82:83]                                   // 00000000491C: BEFE0152
	buffer_load_dword v153, v2, s[12:15], 0 idxen              // 000000004920: E0502000 80039902
	s_mov_b32 exec_lo, -1                                      // 000000004928: BEFE00C1
	s_mov_b32 exec_hi, -1                                      // 00000000492C: BEFF00C1
	v_mov_b32_e32 v154, 0                                      // 000000004930: 7F340280
	s_mov_b64 exec, s[82:83]                                   // 000000004934: BEFE0152
	buffer_load_dword v154, v3, s[12:15], 0 idxen              // 000000004938: E0502000 80039A03
	s_mov_b32 exec_lo, -1                                      // 000000004940: BEFE00C1
	s_mov_b32 exec_hi, -1                                      // 000000004944: BEFF00C1
	v_mov_b32_e32 v155, 0                                      // 000000004948: 7F360280
	s_mov_b64 exec, s[82:83]                                   // 00000000494C: BEFE0152
	buffer_load_dword v155, v4, s[12:15], 0 idxen              // 000000004950: E0502000 80039B04
	s_mov_b32 exec_lo, -1                                      // 000000004958: BEFE00C1
	s_mov_b32 exec_hi, -1                                      // 00000000495C: BEFF00C1
	s_mul_i32 s60, 4, s6                                       // 000000004960: 923C0684
	s_cmp_lt_i32 0, s72                                        // 000000004964: BF044880
	s_cselect_b32 s60, s60, 0                                  // 000000004968: 853C803C
	v_add_u32_e32 v1, s60, v1                                  // 00000000496C: 6802023C
	v_add_u32_e32 v2, s60, v2                                  // 000000004970: 6804043C
	v_add_u32_e32 v3, s60, v3                                  // 000000004974: 6806063C
	v_add_u32_e32 v4, s60, v4                                  // 000000004978: 6808083C
	v_mov_b32_e32 v156, 0                                      // 00000000497C: 7F380280
	s_mov_b64 exec, s[82:83]                                   // 000000004980: BEFE0152
	buffer_load_dword v156, v1, s[12:15], 0 idxen              // 000000004984: E0502000 80039C01
	s_mov_b32 exec_lo, -1                                      // 00000000498C: BEFE00C1
	s_mov_b32 exec_hi, -1                                      // 000000004990: BEFF00C1
	v_mov_b32_e32 v157, 0                                      // 000000004994: 7F3A0280
	s_mov_b64 exec, s[82:83]                                   // 000000004998: BEFE0152
	buffer_load_dword v157, v2, s[12:15], 0 idxen              // 00000000499C: E0502000 80039D02
	s_mov_b32 exec_lo, -1                                      // 0000000049A4: BEFE00C1
	s_mov_b32 exec_hi, -1                                      // 0000000049A8: BEFF00C1
	v_mov_b32_e32 v158, 0                                      // 0000000049AC: 7F3C0280
	s_mov_b64 exec, s[82:83]                                   // 0000000049B0: BEFE0152
	buffer_load_dword v158, v3, s[12:15], 0 idxen              // 0000000049B4: E0502000 80039E03
	s_mov_b32 exec_lo, -1                                      // 0000000049BC: BEFE00C1
	s_mov_b32 exec_hi, -1                                      // 0000000049C0: BEFF00C1
	v_mov_b32_e32 v159, 0                                      // 0000000049C4: 7F3E0280
	s_mov_b64 exec, s[82:83]                                   // 0000000049C8: BEFE0152
	buffer_load_dword v159, v4, s[12:15], 0 idxen              // 0000000049CC: E0502000 80039F04
	s_mov_b32 exec_lo, -1                                      // 0000000049D4: BEFE00C1
	s_mov_b32 exec_hi, -1                                      // 0000000049D8: BEFF00C1
	s_mul_i32 s60, 4, s6                                       // 0000000049DC: 923C0684
	s_cmp_lt_i32 0, s72                                        // 0000000049E0: BF044880
	s_cselect_b32 s60, s60, 0                                  // 0000000049E4: 853C803C
	v_add_u32_e32 v1, s60, v1                                  // 0000000049E8: 6802023C
	v_add_u32_e32 v2, s60, v2                                  // 0000000049EC: 6804043C
	v_add_u32_e32 v3, s60, v3                                  // 0000000049F0: 6806063C
	v_add_u32_e32 v4, s60, v4                                  // 0000000049F4: 6808083C
	v_mov_b32_e32 v160, 0                                      // 0000000049F8: 7F400280
	s_mov_b64 exec, s[82:83]                                   // 0000000049FC: BEFE0152
	buffer_load_dword v160, v1, s[12:15], 0 idxen              // 000000004A00: E0502000 8003A001
	s_mov_b32 exec_lo, -1                                      // 000000004A08: BEFE00C1
	s_mov_b32 exec_hi, -1                                      // 000000004A0C: BEFF00C1
	v_mov_b32_e32 v161, 0                                      // 000000004A10: 7F420280
	s_mov_b64 exec, s[82:83]                                   // 000000004A14: BEFE0152
	buffer_load_dword v161, v2, s[12:15], 0 idxen              // 000000004A18: E0502000 8003A102
	s_mov_b32 exec_lo, -1                                      // 000000004A20: BEFE00C1
	s_mov_b32 exec_hi, -1                                      // 000000004A24: BEFF00C1
	v_mov_b32_e32 v162, 0                                      // 000000004A28: 7F440280
	s_mov_b64 exec, s[82:83]                                   // 000000004A2C: BEFE0152
	buffer_load_dword v162, v3, s[12:15], 0 idxen              // 000000004A30: E0502000 8003A203
	s_mov_b32 exec_lo, -1                                      // 000000004A38: BEFE00C1
	s_mov_b32 exec_hi, -1                                      // 000000004A3C: BEFF00C1
	v_mov_b32_e32 v163, 0                                      // 000000004A40: 7F460280
	s_mov_b64 exec, s[82:83]                                   // 000000004A44: BEFE0152
	buffer_load_dword v163, v4, s[12:15], 0 idxen              // 000000004A48: E0502000 8003A304
	s_mov_b32 exec_lo, -1                                      // 000000004A50: BEFE00C1
	s_mov_b32 exec_hi, -1                                      // 000000004A54: BEFF00C1
	s_mul_i32 s60, 4, s6                                       // 000000004A58: 923C0684
	s_cmp_lt_i32 0, s72                                        // 000000004A5C: BF044880
	s_cselect_b32 s60, s60, 0                                  // 000000004A60: 853C803C
	v_add_u32_e32 v1, s60, v1                                  // 000000004A64: 6802023C
	v_add_u32_e32 v2, s60, v2                                  // 000000004A68: 6804043C
	v_add_u32_e32 v3, s60, v3                                  // 000000004A6C: 6806063C
	v_add_u32_e32 v4, s60, v4                                  // 000000004A70: 6808083C
	v_mov_b32_e32 v164, 0                                      // 000000004A74: 7F480280
	s_mov_b64 exec, s[82:83]                                   // 000000004A78: BEFE0152
	buffer_load_dword v164, v1, s[12:15], 0 idxen              // 000000004A7C: E0502000 8003A401
	s_mov_b32 exec_lo, -1                                      // 000000004A84: BEFE00C1
	s_mov_b32 exec_hi, -1                                      // 000000004A88: BEFF00C1
	v_mov_b32_e32 v165, 0                                      // 000000004A8C: 7F4A0280
	s_mov_b64 exec, s[82:83]                                   // 000000004A90: BEFE0152
	buffer_load_dword v165, v2, s[12:15], 0 idxen              // 000000004A94: E0502000 8003A502
	s_mov_b32 exec_lo, -1                                      // 000000004A9C: BEFE00C1
	s_mov_b32 exec_hi, -1                                      // 000000004AA0: BEFF00C1
	v_mov_b32_e32 v166, 0                                      // 000000004AA4: 7F4C0280
	s_mov_b64 exec, s[82:83]                                   // 000000004AA8: BEFE0152
	buffer_load_dword v166, v3, s[12:15], 0 idxen              // 000000004AAC: E0502000 8003A603
	s_mov_b32 exec_lo, -1                                      // 000000004AB4: BEFE00C1
	s_mov_b32 exec_hi, -1                                      // 000000004AB8: BEFF00C1
	v_mov_b32_e32 v167, 0                                      // 000000004ABC: 7F4E0280
	s_mov_b64 exec, s[82:83]                                   // 000000004AC0: BEFE0152
	buffer_load_dword v167, v4, s[12:15], 0 idxen              // 000000004AC4: E0502000 8003A704
	s_mov_b32 exec_lo, -1                                      // 000000004ACC: BEFE00C1
	s_mov_b32 exec_hi, -1                                      // 000000004AD0: BEFF00C1
	s_mul_i32 s60, 4, s6                                       // 000000004AD4: 923C0684
	s_cmp_lt_i32 1, s72                                        // 000000004AD8: BF044881
	s_cselect_b32 s60, s60, 0                                  // 000000004ADC: 853C803C
	v_add_u32_e32 v1, s60, v1                                  // 000000004AE0: 6802023C
	v_add_u32_e32 v2, s60, v2                                  // 000000004AE4: 6804043C
	v_add_u32_e32 v3, s60, v3                                  // 000000004AE8: 6806063C
	v_add_u32_e32 v4, s60, v4                                  // 000000004AEC: 6808083C
	v_mov_b32_e32 v168, 0                                      // 000000004AF0: 7F500280
	s_mov_b64 exec, s[82:83]                                   // 000000004AF4: BEFE0152
	buffer_load_dword v168, v1, s[12:15], 0 idxen              // 000000004AF8: E0502000 8003A801
	s_mov_b32 exec_lo, -1                                      // 000000004B00: BEFE00C1
	s_mov_b32 exec_hi, -1                                      // 000000004B04: BEFF00C1
	v_mov_b32_e32 v169, 0                                      // 000000004B08: 7F520280
	s_mov_b64 exec, s[82:83]                                   // 000000004B0C: BEFE0152
	buffer_load_dword v169, v2, s[12:15], 0 idxen              // 000000004B10: E0502000 8003A902
	s_mov_b32 exec_lo, -1                                      // 000000004B18: BEFE00C1
	s_mov_b32 exec_hi, -1                                      // 000000004B1C: BEFF00C1
	v_mov_b32_e32 v170, 0                                      // 000000004B20: 7F540280
	s_mov_b64 exec, s[82:83]                                   // 000000004B24: BEFE0152
	buffer_load_dword v170, v3, s[12:15], 0 idxen              // 000000004B28: E0502000 8003AA03
	s_mov_b32 exec_lo, -1                                      // 000000004B30: BEFE00C1
	s_mov_b32 exec_hi, -1                                      // 000000004B34: BEFF00C1
	v_mov_b32_e32 v171, 0                                      // 000000004B38: 7F560280
	s_mov_b64 exec, s[82:83]                                   // 000000004B3C: BEFE0152
	buffer_load_dword v171, v4, s[12:15], 0 idxen              // 000000004B40: E0502000 8003AB04
	s_mov_b32 exec_lo, -1                                      // 000000004B48: BEFE00C1
	s_mov_b32 exec_hi, -1                                      // 000000004B4C: BEFF00C1
	s_mul_i32 s60, 4, s6                                       // 000000004B50: 923C0684
	s_cmp_lt_i32 1, s72                                        // 000000004B54: BF044881
	s_cselect_b32 s60, s60, 0                                  // 000000004B58: 853C803C
	v_add_u32_e32 v1, s60, v1                                  // 000000004B5C: 6802023C
	v_add_u32_e32 v2, s60, v2                                  // 000000004B60: 6804043C
	v_add_u32_e32 v3, s60, v3                                  // 000000004B64: 6806063C
	v_add_u32_e32 v4, s60, v4                                  // 000000004B68: 6808083C
	v_mov_b32_e32 v172, 0                                      // 000000004B6C: 7F580280
	s_mov_b64 exec, s[82:83]                                   // 000000004B70: BEFE0152
	buffer_load_dword v172, v1, s[12:15], 0 idxen              // 000000004B74: E0502000 8003AC01
	s_mov_b32 exec_lo, -1                                      // 000000004B7C: BEFE00C1
	s_mov_b32 exec_hi, -1                                      // 000000004B80: BEFF00C1
	v_mov_b32_e32 v173, 0                                      // 000000004B84: 7F5A0280
	s_mov_b64 exec, s[82:83]                                   // 000000004B88: BEFE0152
	buffer_load_dword v173, v2, s[12:15], 0 idxen              // 000000004B8C: E0502000 8003AD02
	s_mov_b32 exec_lo, -1                                      // 000000004B94: BEFE00C1
	s_mov_b32 exec_hi, -1                                      // 000000004B98: BEFF00C1
	v_mov_b32_e32 v174, 0                                      // 000000004B9C: 7F5C0280
	s_mov_b64 exec, s[82:83]                                   // 000000004BA0: BEFE0152
	buffer_load_dword v174, v3, s[12:15], 0 idxen              // 000000004BA4: E0502000 8003AE03
	s_mov_b32 exec_lo, -1                                      // 000000004BAC: BEFE00C1
	s_mov_b32 exec_hi, -1                                      // 000000004BB0: BEFF00C1
	v_mov_b32_e32 v175, 0                                      // 000000004BB4: 7F5E0280
	s_mov_b64 exec, s[82:83]                                   // 000000004BB8: BEFE0152
	buffer_load_dword v175, v4, s[12:15], 0 idxen              // 000000004BBC: E0502000 8003AF04
	s_mov_b32 exec_lo, -1                                      // 000000004BC4: BEFE00C1
	s_mov_b32 exec_hi, -1                                      // 000000004BC8: BEFF00C1
	s_mul_i32 s60, 4, s6                                       // 000000004BCC: 923C0684
	s_cmp_lt_i32 1, s72                                        // 000000004BD0: BF044881
	s_cselect_b32 s60, s60, 0                                  // 000000004BD4: 853C803C
	v_add_u32_e32 v1, s60, v1                                  // 000000004BD8: 6802023C
	v_add_u32_e32 v2, s60, v2                                  // 000000004BDC: 6804043C
	v_add_u32_e32 v3, s60, v3                                  // 000000004BE0: 6806063C
	v_add_u32_e32 v4, s60, v4                                  // 000000004BE4: 6808083C
	v_mov_b32_e32 v176, 0                                      // 000000004BE8: 7F600280
	s_mov_b64 exec, s[82:83]                                   // 000000004BEC: BEFE0152
	buffer_load_dword v176, v1, s[12:15], 0 idxen              // 000000004BF0: E0502000 8003B001
	s_mov_b32 exec_lo, -1                                      // 000000004BF8: BEFE00C1
	s_mov_b32 exec_hi, -1                                      // 000000004BFC: BEFF00C1
	v_mov_b32_e32 v177, 0                                      // 000000004C00: 7F620280
	s_mov_b64 exec, s[82:83]                                   // 000000004C04: BEFE0152
	buffer_load_dword v177, v2, s[12:15], 0 idxen              // 000000004C08: E0502000 8003B102
	s_mov_b32 exec_lo, -1                                      // 000000004C10: BEFE00C1
	s_mov_b32 exec_hi, -1                                      // 000000004C14: BEFF00C1
	v_mov_b32_e32 v178, 0                                      // 000000004C18: 7F640280
	s_mov_b64 exec, s[82:83]                                   // 000000004C1C: BEFE0152
	buffer_load_dword v178, v3, s[12:15], 0 idxen              // 000000004C20: E0502000 8003B203
	s_mov_b32 exec_lo, -1                                      // 000000004C28: BEFE00C1
	s_mov_b32 exec_hi, -1                                      // 000000004C2C: BEFF00C1
	v_mov_b32_e32 v179, 0                                      // 000000004C30: 7F660280
	s_mov_b64 exec, s[82:83]                                   // 000000004C34: BEFE0152
	buffer_load_dword v179, v4, s[12:15], 0 idxen              // 000000004C38: E0502000 8003B304
	s_mov_b32 exec_lo, -1                                      // 000000004C40: BEFE00C1
	s_mov_b32 exec_hi, -1                                      // 000000004C44: BEFF00C1
	s_mul_i32 s60, 4, s6                                       // 000000004C48: 923C0684
	s_cmp_lt_i32 1, s72                                        // 000000004C4C: BF044881
	s_cselect_b32 s60, s60, 0                                  // 000000004C50: 853C803C
	v_add_u32_e32 v1, s60, v1                                  // 000000004C54: 6802023C
	v_add_u32_e32 v2, s60, v2                                  // 000000004C58: 6804043C
	v_add_u32_e32 v3, s60, v3                                  // 000000004C5C: 6806063C
	v_add_u32_e32 v4, s60, v4                                  // 000000004C60: 6808083C
	v_mov_b32_e32 v180, 0                                      // 000000004C64: 7F680280
	s_mov_b64 exec, s[82:83]                                   // 000000004C68: BEFE0152
	buffer_load_dword v180, v1, s[12:15], 0 idxen              // 000000004C6C: E0502000 8003B401
	s_mov_b32 exec_lo, -1                                      // 000000004C74: BEFE00C1
	s_mov_b32 exec_hi, -1                                      // 000000004C78: BEFF00C1
	v_mov_b32_e32 v181, 0                                      // 000000004C7C: 7F6A0280
	s_mov_b64 exec, s[82:83]                                   // 000000004C80: BEFE0152
	buffer_load_dword v181, v2, s[12:15], 0 idxen              // 000000004C84: E0502000 8003B502
	s_mov_b32 exec_lo, -1                                      // 000000004C8C: BEFE00C1
	s_mov_b32 exec_hi, -1                                      // 000000004C90: BEFF00C1
	v_mov_b32_e32 v182, 0                                      // 000000004C94: 7F6C0280
	s_mov_b64 exec, s[82:83]                                   // 000000004C98: BEFE0152
	buffer_load_dword v182, v3, s[12:15], 0 idxen              // 000000004C9C: E0502000 8003B603
	s_mov_b32 exec_lo, -1                                      // 000000004CA4: BEFE00C1
	s_mov_b32 exec_hi, -1                                      // 000000004CA8: BEFF00C1
	v_mov_b32_e32 v183, 0                                      // 000000004CAC: 7F6E0280
	s_mov_b64 exec, s[82:83]                                   // 000000004CB0: BEFE0152
	buffer_load_dword v183, v4, s[12:15], 0 idxen              // 000000004CB4: E0502000 8003B704
	s_mov_b32 exec_lo, -1                                      // 000000004CBC: BEFE00C1
	s_mov_b32 exec_hi, -1                                      // 000000004CC0: BEFF00C1
	s_mul_i32 s60, 4, s6                                       // 000000004CC4: 923C0684
	s_cmp_lt_i32 2, s72                                        // 000000004CC8: BF044882
	s_cselect_b32 s60, s60, 0                                  // 000000004CCC: 853C803C
	v_add_u32_e32 v1, s60, v1                                  // 000000004CD0: 6802023C
	v_add_u32_e32 v2, s60, v2                                  // 000000004CD4: 6804043C
	v_add_u32_e32 v3, s60, v3                                  // 000000004CD8: 6806063C
	v_add_u32_e32 v4, s60, v4                                  // 000000004CDC: 6808083C
	v_mov_b32_e32 v184, 0                                      // 000000004CE0: 7F700280
	s_mov_b64 exec, s[82:83]                                   // 000000004CE4: BEFE0152
	buffer_load_dword v184, v1, s[12:15], 0 idxen              // 000000004CE8: E0502000 8003B801
	s_mov_b32 exec_lo, -1                                      // 000000004CF0: BEFE00C1
	s_mov_b32 exec_hi, -1                                      // 000000004CF4: BEFF00C1
	v_mov_b32_e32 v185, 0                                      // 000000004CF8: 7F720280
	s_mov_b64 exec, s[82:83]                                   // 000000004CFC: BEFE0152
	buffer_load_dword v185, v2, s[12:15], 0 idxen              // 000000004D00: E0502000 8003B902
	s_mov_b32 exec_lo, -1                                      // 000000004D08: BEFE00C1
	s_mov_b32 exec_hi, -1                                      // 000000004D0C: BEFF00C1
	v_mov_b32_e32 v186, 0                                      // 000000004D10: 7F740280
	s_mov_b64 exec, s[82:83]                                   // 000000004D14: BEFE0152
	buffer_load_dword v186, v3, s[12:15], 0 idxen              // 000000004D18: E0502000 8003BA03
	s_mov_b32 exec_lo, -1                                      // 000000004D20: BEFE00C1
	s_mov_b32 exec_hi, -1                                      // 000000004D24: BEFF00C1
	v_mov_b32_e32 v187, 0                                      // 000000004D28: 7F760280
	s_mov_b64 exec, s[82:83]                                   // 000000004D2C: BEFE0152
	buffer_load_dword v187, v4, s[12:15], 0 idxen              // 000000004D30: E0502000 8003BB04
	s_mov_b32 exec_lo, -1                                      // 000000004D38: BEFE00C1
	s_mov_b32 exec_hi, -1                                      // 000000004D3C: BEFF00C1
	s_mul_i32 s60, 4, s6                                       // 000000004D40: 923C0684
	s_cmp_lt_i32 2, s72                                        // 000000004D44: BF044882
	s_cselect_b32 s60, s60, 0                                  // 000000004D48: 853C803C
	v_add_u32_e32 v1, s60, v1                                  // 000000004D4C: 6802023C
	v_add_u32_e32 v2, s60, v2                                  // 000000004D50: 6804043C
	v_add_u32_e32 v3, s60, v3                                  // 000000004D54: 6806063C
	v_add_u32_e32 v4, s60, v4                                  // 000000004D58: 6808083C
	v_mov_b32_e32 v188, 0                                      // 000000004D5C: 7F780280
	s_mov_b64 exec, s[82:83]                                   // 000000004D60: BEFE0152
	buffer_load_dword v188, v1, s[12:15], 0 idxen              // 000000004D64: E0502000 8003BC01
	s_mov_b32 exec_lo, -1                                      // 000000004D6C: BEFE00C1
	s_mov_b32 exec_hi, -1                                      // 000000004D70: BEFF00C1
	v_mov_b32_e32 v189, 0                                      // 000000004D74: 7F7A0280
	s_mov_b64 exec, s[82:83]                                   // 000000004D78: BEFE0152
	buffer_load_dword v189, v2, s[12:15], 0 idxen              // 000000004D7C: E0502000 8003BD02
	s_mov_b32 exec_lo, -1                                      // 000000004D84: BEFE00C1
	s_mov_b32 exec_hi, -1                                      // 000000004D88: BEFF00C1
	v_mov_b32_e32 v190, 0                                      // 000000004D8C: 7F7C0280
	s_mov_b64 exec, s[82:83]                                   // 000000004D90: BEFE0152
	buffer_load_dword v190, v3, s[12:15], 0 idxen              // 000000004D94: E0502000 8003BE03
	s_mov_b32 exec_lo, -1                                      // 000000004D9C: BEFE00C1
	s_mov_b32 exec_hi, -1                                      // 000000004DA0: BEFF00C1
	v_mov_b32_e32 v191, 0                                      // 000000004DA4: 7F7E0280
	s_mov_b64 exec, s[82:83]                                   // 000000004DA8: BEFE0152
	buffer_load_dword v191, v4, s[12:15], 0 idxen              // 000000004DAC: E0502000 8003BF04
	s_mov_b32 exec_lo, -1                                      // 000000004DB4: BEFE00C1
	s_mov_b32 exec_hi, -1                                      // 000000004DB8: BEFF00C1
	s_mul_i32 s60, 4, s6                                       // 000000004DBC: 923C0684
	s_cmp_lt_i32 2, s72                                        // 000000004DC0: BF044882
	s_cselect_b32 s60, s60, 0                                  // 000000004DC4: 853C803C
	v_add_u32_e32 v1, s60, v1                                  // 000000004DC8: 6802023C
	v_add_u32_e32 v2, s60, v2                                  // 000000004DCC: 6804043C
	v_add_u32_e32 v3, s60, v3                                  // 000000004DD0: 6806063C
	v_add_u32_e32 v4, s60, v4                                  // 000000004DD4: 6808083C
	v_mov_b32_e32 v192, 0                                      // 000000004DD8: 7F800280
	s_mov_b64 exec, s[82:83]                                   // 000000004DDC: BEFE0152
	buffer_load_dword v192, v1, s[12:15], 0 idxen              // 000000004DE0: E0502000 8003C001
	s_mov_b32 exec_lo, -1                                      // 000000004DE8: BEFE00C1
	s_mov_b32 exec_hi, -1                                      // 000000004DEC: BEFF00C1
	v_mov_b32_e32 v193, 0                                      // 000000004DF0: 7F820280
	s_mov_b64 exec, s[82:83]                                   // 000000004DF4: BEFE0152
	buffer_load_dword v193, v2, s[12:15], 0 idxen              // 000000004DF8: E0502000 8003C102
	s_mov_b32 exec_lo, -1                                      // 000000004E00: BEFE00C1
	s_mov_b32 exec_hi, -1                                      // 000000004E04: BEFF00C1
	v_mov_b32_e32 v194, 0                                      // 000000004E08: 7F840280
	s_mov_b64 exec, s[82:83]                                   // 000000004E0C: BEFE0152
	buffer_load_dword v194, v3, s[12:15], 0 idxen              // 000000004E10: E0502000 8003C203
	s_mov_b32 exec_lo, -1                                      // 000000004E18: BEFE00C1
	s_mov_b32 exec_hi, -1                                      // 000000004E1C: BEFF00C1
	v_mov_b32_e32 v195, 0                                      // 000000004E20: 7F860280
	s_mov_b64 exec, s[82:83]                                   // 000000004E24: BEFE0152
	buffer_load_dword v195, v4, s[12:15], 0 idxen              // 000000004E28: E0502000 8003C304
	s_mov_b32 exec_lo, -1                                      // 000000004E30: BEFE00C1
	s_mov_b32 exec_hi, -1                                      // 000000004E34: BEFF00C1
	s_mul_i32 s60, 4, s6                                       // 000000004E38: 923C0684
	s_cmp_lt_i32 2, s72                                        // 000000004E3C: BF044882
	s_cselect_b32 s60, s60, 0                                  // 000000004E40: 853C803C
	v_add_u32_e32 v1, s60, v1                                  // 000000004E44: 6802023C
	v_add_u32_e32 v2, s60, v2                                  // 000000004E48: 6804043C
	v_add_u32_e32 v3, s60, v3                                  // 000000004E4C: 6806063C
	v_add_u32_e32 v4, s60, v4                                  // 000000004E50: 6808083C
	v_mov_b32_e32 v196, 0                                      // 000000004E54: 7F880280
	s_mov_b64 exec, s[82:83]                                   // 000000004E58: BEFE0152
	buffer_load_dword v196, v1, s[12:15], 0 idxen              // 000000004E5C: E0502000 8003C401
	s_mov_b32 exec_lo, -1                                      // 000000004E64: BEFE00C1
	s_mov_b32 exec_hi, -1                                      // 000000004E68: BEFF00C1
	v_mov_b32_e32 v197, 0                                      // 000000004E6C: 7F8A0280
	s_mov_b64 exec, s[82:83]                                   // 000000004E70: BEFE0152
	buffer_load_dword v197, v2, s[12:15], 0 idxen              // 000000004E74: E0502000 8003C502
	s_mov_b32 exec_lo, -1                                      // 000000004E7C: BEFE00C1
	s_mov_b32 exec_hi, -1                                      // 000000004E80: BEFF00C1
	v_mov_b32_e32 v198, 0                                      // 000000004E84: 7F8C0280
	s_mov_b64 exec, s[82:83]                                   // 000000004E88: BEFE0152
	buffer_load_dword v198, v3, s[12:15], 0 idxen              // 000000004E8C: E0502000 8003C603
	s_mov_b32 exec_lo, -1                                      // 000000004E94: BEFE00C1
	s_mov_b32 exec_hi, -1                                      // 000000004E98: BEFF00C1
	v_mov_b32_e32 v199, 0                                      // 000000004E9C: 7F8E0280
	s_mov_b64 exec, s[82:83]                                   // 000000004EA0: BEFE0152
	buffer_load_dword v199, v4, s[12:15], 0 idxen              // 000000004EA4: E0502000 8003C704
	s_mov_b32 exec_lo, -1                                      // 000000004EAC: BEFE00C1
	s_mov_b32 exec_hi, -1                                      // 000000004EB0: BEFF00C1
	s_mul_i32 s60, 4, s6                                       // 000000004EB4: 923C0684
	s_cmp_lt_i32 3, s72                                        // 000000004EB8: BF044883
	s_cselect_b32 s60, s60, 0                                  // 000000004EBC: 853C803C
	v_add_u32_e32 v1, s60, v1                                  // 000000004EC0: 6802023C
	v_add_u32_e32 v2, s60, v2                                  // 000000004EC4: 6804043C
	v_add_u32_e32 v3, s60, v3                                  // 000000004EC8: 6806063C
	v_add_u32_e32 v4, s60, v4                                  // 000000004ECC: 6808083C
	s_waitcnt vmcnt(32) lgkmcnt(0)                             // 000000004ED0: BF8C8070
	s_barrier                                                  // 000000004ED4: BF8A0000
	s_cmp_lt_i32 0, s72                                        // 000000004ED8: BF044880
	s_cbranch_scc1 label_0448                                  // 000000004EDC: BF850010
	v_mov_b32_e32 v152, 0                                      // 000000004EE0: 7F300280
	v_mov_b32_e32 v153, 0                                      // 000000004EE4: 7F320280
	v_mov_b32_e32 v154, 0                                      // 000000004EE8: 7F340280
	v_mov_b32_e32 v155, 0                                      // 000000004EEC: 7F360280
	v_mov_b32_e32 v156, 0                                      // 000000004EF0: 7F380280
	v_mov_b32_e32 v157, 0                                      // 000000004EF4: 7F3A0280
	v_mov_b32_e32 v158, 0                                      // 000000004EF8: 7F3C0280
	v_mov_b32_e32 v159, 0                                      // 000000004EFC: 7F3E0280
	v_mov_b32_e32 v160, 0                                      // 000000004F00: 7F400280
	v_mov_b32_e32 v161, 0                                      // 000000004F04: 7F420280
	v_mov_b32_e32 v162, 0                                      // 000000004F08: 7F440280
	v_mov_b32_e32 v163, 0                                      // 000000004F0C: 7F460280
	v_mov_b32_e32 v164, 0                                      // 000000004F10: 7F480280
	v_mov_b32_e32 v165, 0                                      // 000000004F14: 7F4A0280
	v_mov_b32_e32 v166, 0                                      // 000000004F18: 7F4C0280
	v_mov_b32_e32 v167, 0                                      // 000000004F1C: 7F4E0280

0000000000004f20 <label_0448>:
	v_perm_b32 v200, v153, v152, s63                           // 000000004F20: D1ED00C8 00FF3199
	v_perm_b32 v201, v153, v152, s64                           // 000000004F28: D1ED00C9 01033199
	v_perm_b32 v202, v155, v154, s63                           // 000000004F30: D1ED00CA 00FF359B
	v_perm_b32 v203, v155, v154, s64                           // 000000004F38: D1ED00CB 0103359B
	v_perm_b32 v204, v157, v156, s63                           // 000000004F40: D1ED00CC 00FF399D
	v_perm_b32 v205, v157, v156, s64                           // 000000004F48: D1ED00CD 0103399D
	v_perm_b32 v206, v159, v158, s63                           // 000000004F50: D1ED00CE 00FF3D9F
	v_perm_b32 v207, v159, v158, s64                           // 000000004F58: D1ED00CF 01033D9F
	v_perm_b32 v208, v161, v160, s63                           // 000000004F60: D1ED00D0 00FF41A1
	v_perm_b32 v209, v161, v160, s64                           // 000000004F68: D1ED00D1 010341A1
	v_perm_b32 v210, v163, v162, s63                           // 000000004F70: D1ED00D2 00FF45A3
	v_perm_b32 v211, v163, v162, s64                           // 000000004F78: D1ED00D3 010345A3
	v_perm_b32 v212, v165, v164, s63                           // 000000004F80: D1ED00D4 00FF49A5
	v_perm_b32 v213, v165, v164, s64                           // 000000004F88: D1ED00D5 010349A5
	v_perm_b32 v214, v167, v166, s63                           // 000000004F90: D1ED00D6 00FF4DA7
	v_perm_b32 v215, v167, v166, s64                           // 000000004F98: D1ED00D7 01034DA7
	ds_write_b32 v13, v200 offset:17408                        // 000000004FA0: D81A4400 0000C80D
	ds_write_b32 v13, v201 offset:18464                        // 000000004FA8: D81A4820 0000C90D
	ds_write_b32 v13, v202 offset:17536                        // 000000004FB0: D81A4480 0000CA0D
	ds_write_b32 v13, v203 offset:18592                        // 000000004FB8: D81A48A0 0000CB0D
	ds_write_b32 v13, v204 offset:21760                        // 000000004FC0: D81A5500 0000CC0D
	ds_write_b32 v13, v205 offset:22816                        // 000000004FC8: D81A5920 0000CD0D
	ds_write_b32 v13, v206 offset:21888                        // 000000004FD0: D81A5580 0000CE0D
	ds_write_b32 v13, v207 offset:22944                        // 000000004FD8: D81A59A0 0000CF0D
	ds_write_b32 v13, v208 offset:26112                        // 000000004FE0: D81A6600 0000D00D
	ds_write_b32 v13, v209 offset:27168                        // 000000004FE8: D81A6A20 0000D10D
	ds_write_b32 v13, v210 offset:26240                        // 000000004FF0: D81A6680 0000D20D
	ds_write_b32 v13, v211 offset:27296                        // 000000004FF8: D81A6AA0 0000D30D
	ds_write_b32 v13, v212 offset:30464                        // 000000005000: D81A7700 0000D40D
	ds_write_b32 v13, v213 offset:31520                        // 000000005008: D81A7B20 0000D50D
	ds_write_b32 v13, v214 offset:30592                        // 000000005010: D81A7780 0000D60D
	ds_write_b32 v13, v215 offset:31648                        // 000000005018: D81A7BA0 0000D70D
	ds_write_b32 v11, v152                                     // 000000005020: D81A0000 0000980B
	ds_write_b32 v11, v153 offset:1056                         // 000000005028: D81A0420 0000990B
	ds_write_b32 v11, v154 offset:128                          // 000000005030: D81A0080 00009A0B
	ds_write_b32 v11, v155 offset:1184                         // 000000005038: D81A04A0 00009B0B
	ds_write_b32 v11, v156 offset:4352                         // 000000005040: D81A1100 00009C0B
	ds_write_b32 v11, v157 offset:5408                         // 000000005048: D81A1520 00009D0B
	ds_write_b32 v11, v158 offset:4480                         // 000000005050: D81A1180 00009E0B
	ds_write_b32 v11, v159 offset:5536                         // 000000005058: D81A15A0 00009F0B
	ds_write_b32 v11, v160 offset:8704                         // 000000005060: D81A2200 0000A00B
	ds_write_b32 v11, v161 offset:9760                         // 000000005068: D81A2620 0000A10B
	ds_write_b32 v11, v162 offset:8832                         // 000000005070: D81A2280 0000A20B
	ds_write_b32 v11, v163 offset:9888                         // 000000005078: D81A26A0 0000A30B
	ds_write_b32 v11, v164 offset:13056                        // 000000005080: D81A3300 0000A40B
	ds_write_b32 v11, v165 offset:14112                        // 000000005088: D81A3720 0000A50B
	ds_write_b32 v11, v166 offset:13184                        // 000000005090: D81A3380 0000A60B
	ds_write_b32 v11, v167 offset:14240                        // 000000005098: D81A37A0 0000A70B
	v_mov_b32_e32 v152, 0                                      // 0000000050A0: 7F300280
	s_mov_b64 exec, s[82:83]                                   // 0000000050A4: BEFE0152
	buffer_load_dword v152, v252, s[16:19], 0 idxen            // 0000000050A8: E0502000 800498FC
	s_mov_b32 exec_lo, -1                                      // 0000000050B0: BEFE00C1
	s_mov_b32 exec_hi, -1                                      // 0000000050B4: BEFF00C1
	v_mov_b32_e32 v153, 0                                      // 0000000050B8: 7F320280
	s_mov_b64 exec, s[82:83]                                   // 0000000050BC: BEFE0152
	buffer_load_dword v153, v253, s[16:19], 0 idxen            // 0000000050C0: E0502000 800499FD
	s_mov_b32 exec_lo, -1                                      // 0000000050C8: BEFE00C1
	s_mov_b32 exec_hi, -1                                      // 0000000050CC: BEFF00C1
	v_mov_b32_e32 v154, 0                                      // 0000000050D0: 7F340280
	s_mov_b64 exec, s[82:83]                                   // 0000000050D4: BEFE0152
	buffer_load_dword v154, v254, s[16:19], 0 idxen            // 0000000050D8: E0502000 80049AFE
	s_mov_b32 exec_lo, -1                                      // 0000000050E0: BEFE00C1
	s_mov_b32 exec_hi, -1                                      // 0000000050E4: BEFF00C1
	v_mov_b32_e32 v155, 0                                      // 0000000050E8: 7F360280
	s_mov_b64 exec, s[82:83]                                   // 0000000050EC: BEFE0152
	buffer_load_dword v155, v255, s[16:19], 0 idxen            // 0000000050F0: E0502000 80049BFF
	s_mov_b32 exec_lo, -1                                      // 0000000050F8: BEFE00C1
	s_mov_b32 exec_hi, -1                                      // 0000000050FC: BEFF00C1
	s_mul_i32 s60, 4, s7                                       // 000000005100: 923C0784
	s_cmp_lt_i32 0, s72                                        // 000000005104: BF044880
	s_cselect_b32 s60, s60, 0                                  // 000000005108: 853C803C
	v_add_u32_e32 v252, s60, v252                              // 00000000510C: 69F9F83C
	v_add_u32_e32 v253, s60, v253                              // 000000005110: 69FBFA3C
	v_add_u32_e32 v254, s60, v254                              // 000000005114: 69FDFC3C
	v_add_u32_e32 v255, s60, v255                              // 000000005118: 69FFFE3C
	v_mov_b32_e32 v156, 0                                      // 00000000511C: 7F380280
	s_mov_b64 exec, s[82:83]                                   // 000000005120: BEFE0152
	buffer_load_dword v156, v252, s[16:19], 0 idxen            // 000000005124: E0502000 80049CFC
	s_mov_b32 exec_lo, -1                                      // 00000000512C: BEFE00C1
	s_mov_b32 exec_hi, -1                                      // 000000005130: BEFF00C1
	v_mov_b32_e32 v157, 0                                      // 000000005134: 7F3A0280
	s_mov_b64 exec, s[82:83]                                   // 000000005138: BEFE0152
	buffer_load_dword v157, v253, s[16:19], 0 idxen            // 00000000513C: E0502000 80049DFD
	s_mov_b32 exec_lo, -1                                      // 000000005144: BEFE00C1
	s_mov_b32 exec_hi, -1                                      // 000000005148: BEFF00C1
	v_mov_b32_e32 v158, 0                                      // 00000000514C: 7F3C0280
	s_mov_b64 exec, s[82:83]                                   // 000000005150: BEFE0152
	buffer_load_dword v158, v254, s[16:19], 0 idxen            // 000000005154: E0502000 80049EFE
	s_mov_b32 exec_lo, -1                                      // 00000000515C: BEFE00C1
	s_mov_b32 exec_hi, -1                                      // 000000005160: BEFF00C1
	v_mov_b32_e32 v159, 0                                      // 000000005164: 7F3E0280
	s_mov_b64 exec, s[82:83]                                   // 000000005168: BEFE0152
	buffer_load_dword v159, v255, s[16:19], 0 idxen            // 00000000516C: E0502000 80049FFF
	s_mov_b32 exec_lo, -1                                      // 000000005174: BEFE00C1
	s_mov_b32 exec_hi, -1                                      // 000000005178: BEFF00C1
	s_mul_i32 s60, 4, s7                                       // 00000000517C: 923C0784
	s_cmp_lt_i32 0, s72                                        // 000000005180: BF044880
	s_cselect_b32 s60, s60, 0                                  // 000000005184: 853C803C
	v_add_u32_e32 v252, s60, v252                              // 000000005188: 69F9F83C
	v_add_u32_e32 v253, s60, v253                              // 00000000518C: 69FBFA3C
	v_add_u32_e32 v254, s60, v254                              // 000000005190: 69FDFC3C
	v_add_u32_e32 v255, s60, v255                              // 000000005194: 69FFFE3C
	v_mov_b32_e32 v160, 0                                      // 000000005198: 7F400280
	s_mov_b64 exec, s[82:83]                                   // 00000000519C: BEFE0152
	buffer_load_dword v160, v252, s[16:19], 0 idxen            // 0000000051A0: E0502000 8004A0FC
	s_mov_b32 exec_lo, -1                                      // 0000000051A8: BEFE00C1
	s_mov_b32 exec_hi, -1                                      // 0000000051AC: BEFF00C1
	v_mov_b32_e32 v161, 0                                      // 0000000051B0: 7F420280
	s_mov_b64 exec, s[82:83]                                   // 0000000051B4: BEFE0152
	buffer_load_dword v161, v253, s[16:19], 0 idxen            // 0000000051B8: E0502000 8004A1FD
	s_mov_b32 exec_lo, -1                                      // 0000000051C0: BEFE00C1
	s_mov_b32 exec_hi, -1                                      // 0000000051C4: BEFF00C1
	v_mov_b32_e32 v162, 0                                      // 0000000051C8: 7F440280
	s_mov_b64 exec, s[82:83]                                   // 0000000051CC: BEFE0152
	buffer_load_dword v162, v254, s[16:19], 0 idxen            // 0000000051D0: E0502000 8004A2FE
	s_mov_b32 exec_lo, -1                                      // 0000000051D8: BEFE00C1
	s_mov_b32 exec_hi, -1                                      // 0000000051DC: BEFF00C1
	v_mov_b32_e32 v163, 0                                      // 0000000051E0: 7F460280
	s_mov_b64 exec, s[82:83]                                   // 0000000051E4: BEFE0152
	buffer_load_dword v163, v255, s[16:19], 0 idxen            // 0000000051E8: E0502000 8004A3FF
	s_mov_b32 exec_lo, -1                                      // 0000000051F0: BEFE00C1
	s_mov_b32 exec_hi, -1                                      // 0000000051F4: BEFF00C1
	s_mul_i32 s60, 4, s7                                       // 0000000051F8: 923C0784
	s_cmp_lt_i32 0, s72                                        // 0000000051FC: BF044880
	s_cselect_b32 s60, s60, 0                                  // 000000005200: 853C803C
	v_add_u32_e32 v252, s60, v252                              // 000000005204: 69F9F83C
	v_add_u32_e32 v253, s60, v253                              // 000000005208: 69FBFA3C
	v_add_u32_e32 v254, s60, v254                              // 00000000520C: 69FDFC3C
	v_add_u32_e32 v255, s60, v255                              // 000000005210: 69FFFE3C
	v_mov_b32_e32 v164, 0                                      // 000000005214: 7F480280
	s_mov_b64 exec, s[82:83]                                   // 000000005218: BEFE0152
	buffer_load_dword v164, v252, s[16:19], 0 idxen            // 00000000521C: E0502000 8004A4FC
	s_mov_b32 exec_lo, -1                                      // 000000005224: BEFE00C1
	s_mov_b32 exec_hi, -1                                      // 000000005228: BEFF00C1
	v_mov_b32_e32 v165, 0                                      // 00000000522C: 7F4A0280
	s_mov_b64 exec, s[82:83]                                   // 000000005230: BEFE0152
	buffer_load_dword v165, v253, s[16:19], 0 idxen            // 000000005234: E0502000 8004A5FD
	s_mov_b32 exec_lo, -1                                      // 00000000523C: BEFE00C1
	s_mov_b32 exec_hi, -1                                      // 000000005240: BEFF00C1
	v_mov_b32_e32 v166, 0                                      // 000000005244: 7F4C0280
	s_mov_b64 exec, s[82:83]                                   // 000000005248: BEFE0152
	buffer_load_dword v166, v254, s[16:19], 0 idxen            // 00000000524C: E0502000 8004A6FE
	s_mov_b32 exec_lo, -1                                      // 000000005254: BEFE00C1
	s_mov_b32 exec_hi, -1                                      // 000000005258: BEFF00C1
	v_mov_b32_e32 v167, 0                                      // 00000000525C: 7F4E0280
	s_mov_b64 exec, s[82:83]                                   // 000000005260: BEFE0152
	buffer_load_dword v167, v255, s[16:19], 0 idxen            // 000000005264: E0502000 8004A7FF
	s_mov_b32 exec_lo, -1                                      // 00000000526C: BEFE00C1
	s_mov_b32 exec_hi, -1                                      // 000000005270: BEFF00C1
	s_mul_i32 s60, 4, s7                                       // 000000005274: 923C0784
	s_cmp_lt_i32 1, s72                                        // 000000005278: BF044881
	s_cselect_b32 s60, s60, 0                                  // 00000000527C: 853C803C
	v_add_u32_e32 v252, s60, v252                              // 000000005280: 69F9F83C
	v_add_u32_e32 v253, s60, v253                              // 000000005284: 69FBFA3C
	v_add_u32_e32 v254, s60, v254                              // 000000005288: 69FDFC3C
	v_add_u32_e32 v255, s60, v255                              // 00000000528C: 69FFFE3C
	s_waitcnt lgkmcnt(0)                                       // 000000005290: BF8CC07F
	s_barrier                                                  // 000000005294: BF8A0000
	ds_read_b128 a[48:51], v23 offset:17408                    // 000000005298: DBFE4400 30000017
	ds_read_b128 a[52:55], v23 offset:17664                    // 0000000052A0: DBFE4500 34000017
	ds_read_b128 a[56:59], v23 offset:26112                    // 0000000052A8: DBFE6600 38000017
	ds_read_b128 a[60:63], v23 offset:26368                    // 0000000052B0: DBFE6700 3C000017
	ds_read_b128 a[0:3], v22                                   // 0000000052B8: DBFE0000 00000016
	ds_read_b128 a[4:7], v22 offset:512                        // 0000000052C0: DBFE0200 04000016
	ds_read_b128 a[8:11], v22 offset:2176                      // 0000000052C8: DBFE0880 08000016
	ds_read_b128 a[12:15], v22 offset:2688                     // 0000000052D0: DBFE0A80 0C000016
	s_waitcnt vmcnt(32) lgkmcnt(0)                             // 0000000052D8: BF8C8070
	s_barrier                                                  // 0000000052DC: BF8A0000
	s_cmp_lt_i32 1, s72                                        // 0000000052E0: BF044881
	s_cbranch_scc1 label_054A                                  // 0000000052E4: BF850010
	v_mov_b32_e32 v168, 0                                      // 0000000052E8: 7F500280
	v_mov_b32_e32 v169, 0                                      // 0000000052EC: 7F520280
	v_mov_b32_e32 v170, 0                                      // 0000000052F0: 7F540280
	v_mov_b32_e32 v171, 0                                      // 0000000052F4: 7F560280
	v_mov_b32_e32 v172, 0                                      // 0000000052F8: 7F580280
	v_mov_b32_e32 v173, 0                                      // 0000000052FC: 7F5A0280
	v_mov_b32_e32 v174, 0                                      // 000000005300: 7F5C0280
	v_mov_b32_e32 v175, 0                                      // 000000005304: 7F5E0280
	v_mov_b32_e32 v176, 0                                      // 000000005308: 7F600280
	v_mov_b32_e32 v177, 0                                      // 00000000530C: 7F620280
	v_mov_b32_e32 v178, 0                                      // 000000005310: 7F640280
	v_mov_b32_e32 v179, 0                                      // 000000005314: 7F660280
	v_mov_b32_e32 v180, 0                                      // 000000005318: 7F680280
	v_mov_b32_e32 v181, 0                                      // 00000000531C: 7F6A0280
	v_mov_b32_e32 v182, 0                                      // 000000005320: 7F6C0280
	v_mov_b32_e32 v183, 0                                      // 000000005324: 7F6E0280

0000000000005328 <label_054A>:
	v_perm_b32 v200, v169, v168, s63                           // 000000005328: D1ED00C8 00FF51A9
	v_perm_b32 v201, v169, v168, s64                           // 000000005330: D1ED00C9 010351A9
	v_perm_b32 v202, v171, v170, s63                           // 000000005338: D1ED00CA 00FF55AB
	v_perm_b32 v203, v171, v170, s64                           // 000000005340: D1ED00CB 010355AB
	v_perm_b32 v204, v173, v172, s63                           // 000000005348: D1ED00CC 00FF59AD
	v_perm_b32 v205, v173, v172, s64                           // 000000005350: D1ED00CD 010359AD
	v_perm_b32 v206, v175, v174, s63                           // 000000005358: D1ED00CE 00FF5DAF
	v_perm_b32 v207, v175, v174, s64                           // 000000005360: D1ED00CF 01035DAF
	v_perm_b32 v208, v177, v176, s63                           // 000000005368: D1ED00D0 00FF61B1
	v_perm_b32 v209, v177, v176, s64                           // 000000005370: D1ED00D1 010361B1
	v_perm_b32 v210, v179, v178, s63                           // 000000005378: D1ED00D2 00FF65B3
	v_perm_b32 v211, v179, v178, s64                           // 000000005380: D1ED00D3 010365B3
	v_perm_b32 v212, v181, v180, s63                           // 000000005388: D1ED00D4 00FF69B5
	v_perm_b32 v213, v181, v180, s64                           // 000000005390: D1ED00D5 010369B5
	v_perm_b32 v214, v183, v182, s63                           // 000000005398: D1ED00D6 00FF6DB7
	v_perm_b32 v215, v183, v182, s64                           // 0000000053A0: D1ED00D7 01036DB7
	ds_write_b32 v13, v200 offset:17408                        // 0000000053A8: D81A4400 0000C80D
	ds_write_b32 v13, v201 offset:18464                        // 0000000053B0: D81A4820 0000C90D
	ds_write_b32 v13, v202 offset:17536                        // 0000000053B8: D81A4480 0000CA0D
	ds_write_b32 v13, v203 offset:18592                        // 0000000053C0: D81A48A0 0000CB0D
	ds_write_b32 v13, v204 offset:21760                        // 0000000053C8: D81A5500 0000CC0D
	ds_write_b32 v13, v205 offset:22816                        // 0000000053D0: D81A5920 0000CD0D
	ds_write_b32 v13, v206 offset:21888                        // 0000000053D8: D81A5580 0000CE0D
	ds_write_b32 v13, v207 offset:22944                        // 0000000053E0: D81A59A0 0000CF0D
	ds_write_b32 v13, v208 offset:26112                        // 0000000053E8: D81A6600 0000D00D
	ds_write_b32 v13, v209 offset:27168                        // 0000000053F0: D81A6A20 0000D10D
	ds_write_b32 v13, v210 offset:26240                        // 0000000053F8: D81A6680 0000D20D
	ds_write_b32 v13, v211 offset:27296                        // 000000005400: D81A6AA0 0000D30D
	ds_write_b32 v13, v212 offset:30464                        // 000000005408: D81A7700 0000D40D
	ds_write_b32 v13, v213 offset:31520                        // 000000005410: D81A7B20 0000D50D
	ds_write_b32 v13, v214 offset:30592                        // 000000005418: D81A7780 0000D60D
	ds_write_b32 v13, v215 offset:31648                        // 000000005420: D81A7BA0 0000D70D
	ds_write_b32 v11, v168                                     // 000000005428: D81A0000 0000A80B
	ds_write_b32 v11, v169 offset:1056                         // 000000005430: D81A0420 0000A90B
	ds_write_b32 v11, v170 offset:128                          // 000000005438: D81A0080 0000AA0B
	ds_write_b32 v11, v171 offset:1184                         // 000000005440: D81A04A0 0000AB0B
	ds_write_b32 v11, v172 offset:4352                         // 000000005448: D81A1100 0000AC0B
	ds_write_b32 v11, v173 offset:5408                         // 000000005450: D81A1520 0000AD0B
	ds_write_b32 v11, v174 offset:4480                         // 000000005458: D81A1180 0000AE0B
	ds_write_b32 v11, v175 offset:5536                         // 000000005460: D81A15A0 0000AF0B
	ds_write_b32 v11, v176 offset:8704                         // 000000005468: D81A2200 0000B00B
	ds_write_b32 v11, v177 offset:9760                         // 000000005470: D81A2620 0000B10B
	ds_write_b32 v11, v178 offset:8832                         // 000000005478: D81A2280 0000B20B
	ds_write_b32 v11, v179 offset:9888                         // 000000005480: D81A26A0 0000B30B
	ds_write_b32 v11, v180 offset:13056                        // 000000005488: D81A3300 0000B40B
	ds_write_b32 v11, v181 offset:14112                        // 000000005490: D81A3720 0000B50B
	ds_write_b32 v11, v182 offset:13184                        // 000000005498: D81A3380 0000B60B
	ds_write_b32 v11, v183 offset:14240                        // 0000000054A0: D81A37A0 0000B70B
	v_mov_b32_e32 v168, 0                                      // 0000000054A8: 7F500280
	s_mov_b64 exec, s[82:83]                                   // 0000000054AC: BEFE0152
	buffer_load_dword v168, v252, s[16:19], 0 idxen            // 0000000054B0: E0502000 8004A8FC
	s_mov_b32 exec_lo, -1                                      // 0000000054B8: BEFE00C1
	s_mov_b32 exec_hi, -1                                      // 0000000054BC: BEFF00C1
	v_mov_b32_e32 v169, 0                                      // 0000000054C0: 7F520280
	s_mov_b64 exec, s[82:83]                                   // 0000000054C4: BEFE0152
	buffer_load_dword v169, v253, s[16:19], 0 idxen            // 0000000054C8: E0502000 8004A9FD
	s_mov_b32 exec_lo, -1                                      // 0000000054D0: BEFE00C1
	s_mov_b32 exec_hi, -1                                      // 0000000054D4: BEFF00C1
	v_mov_b32_e32 v170, 0                                      // 0000000054D8: 7F540280
	s_mov_b64 exec, s[82:83]                                   // 0000000054DC: BEFE0152
	buffer_load_dword v170, v254, s[16:19], 0 idxen            // 0000000054E0: E0502000 8004AAFE
	s_mov_b32 exec_lo, -1                                      // 0000000054E8: BEFE00C1
	s_mov_b32 exec_hi, -1                                      // 0000000054EC: BEFF00C1
	v_mov_b32_e32 v171, 0                                      // 0000000054F0: 7F560280
	s_mov_b64 exec, s[82:83]                                   // 0000000054F4: BEFE0152
	buffer_load_dword v171, v255, s[16:19], 0 idxen            // 0000000054F8: E0502000 8004ABFF
	s_mov_b32 exec_lo, -1                                      // 000000005500: BEFE00C1
	s_mov_b32 exec_hi, -1                                      // 000000005504: BEFF00C1
	s_mul_i32 s60, 4, s7                                       // 000000005508: 923C0784
	s_cmp_lt_i32 1, s72                                        // 00000000550C: BF044881
	s_cselect_b32 s60, s60, 0                                  // 000000005510: 853C803C
	v_add_u32_e32 v252, s60, v252                              // 000000005514: 69F9F83C
	v_add_u32_e32 v253, s60, v253                              // 000000005518: 69FBFA3C
	v_add_u32_e32 v254, s60, v254                              // 00000000551C: 69FDFC3C
	v_add_u32_e32 v255, s60, v255                              // 000000005520: 69FFFE3C
	v_mov_b32_e32 v172, 0                                      // 000000005524: 7F580280
	s_mov_b64 exec, s[82:83]                                   // 000000005528: BEFE0152
	buffer_load_dword v172, v252, s[16:19], 0 idxen            // 00000000552C: E0502000 8004ACFC
	s_mov_b32 exec_lo, -1                                      // 000000005534: BEFE00C1
	s_mov_b32 exec_hi, -1                                      // 000000005538: BEFF00C1
	v_mov_b32_e32 v173, 0                                      // 00000000553C: 7F5A0280
	s_mov_b64 exec, s[82:83]                                   // 000000005540: BEFE0152
	buffer_load_dword v173, v253, s[16:19], 0 idxen            // 000000005544: E0502000 8004ADFD
	s_mov_b32 exec_lo, -1                                      // 00000000554C: BEFE00C1
	s_mov_b32 exec_hi, -1                                      // 000000005550: BEFF00C1
	v_mov_b32_e32 v174, 0                                      // 000000005554: 7F5C0280
	s_mov_b64 exec, s[82:83]                                   // 000000005558: BEFE0152
	buffer_load_dword v174, v254, s[16:19], 0 idxen            // 00000000555C: E0502000 8004AEFE
	s_mov_b32 exec_lo, -1                                      // 000000005564: BEFE00C1
	s_mov_b32 exec_hi, -1                                      // 000000005568: BEFF00C1
	v_mov_b32_e32 v175, 0                                      // 00000000556C: 7F5E0280
	s_mov_b64 exec, s[82:83]                                   // 000000005570: BEFE0152
	buffer_load_dword v175, v255, s[16:19], 0 idxen            // 000000005574: E0502000 8004AFFF
	s_mov_b32 exec_lo, -1                                      // 00000000557C: BEFE00C1
	s_mov_b32 exec_hi, -1                                      // 000000005580: BEFF00C1
	s_mul_i32 s60, 4, s7                                       // 000000005584: 923C0784
	s_cmp_lt_i32 1, s72                                        // 000000005588: BF044881
	s_cselect_b32 s60, s60, 0                                  // 00000000558C: 853C803C
	v_add_u32_e32 v252, s60, v252                              // 000000005590: 69F9F83C
	v_add_u32_e32 v253, s60, v253                              // 000000005594: 69FBFA3C
	v_add_u32_e32 v254, s60, v254                              // 000000005598: 69FDFC3C
	v_add_u32_e32 v255, s60, v255                              // 00000000559C: 69FFFE3C
	v_mov_b32_e32 v176, 0                                      // 0000000055A0: 7F600280
	s_mov_b64 exec, s[82:83]                                   // 0000000055A4: BEFE0152
	buffer_load_dword v176, v252, s[16:19], 0 idxen            // 0000000055A8: E0502000 8004B0FC
	s_mov_b32 exec_lo, -1                                      // 0000000055B0: BEFE00C1
	s_mov_b32 exec_hi, -1                                      // 0000000055B4: BEFF00C1
	v_mov_b32_e32 v177, 0                                      // 0000000055B8: 7F620280
	s_mov_b64 exec, s[82:83]                                   // 0000000055BC: BEFE0152
	buffer_load_dword v177, v253, s[16:19], 0 idxen            // 0000000055C0: E0502000 8004B1FD
	s_mov_b32 exec_lo, -1                                      // 0000000055C8: BEFE00C1
	s_mov_b32 exec_hi, -1                                      // 0000000055CC: BEFF00C1
	v_mov_b32_e32 v178, 0                                      // 0000000055D0: 7F640280
	s_mov_b64 exec, s[82:83]                                   // 0000000055D4: BEFE0152
	buffer_load_dword v178, v254, s[16:19], 0 idxen            // 0000000055D8: E0502000 8004B2FE
	s_mov_b32 exec_lo, -1                                      // 0000000055E0: BEFE00C1
	s_mov_b32 exec_hi, -1                                      // 0000000055E4: BEFF00C1
	v_mov_b32_e32 v179, 0                                      // 0000000055E8: 7F660280
	s_mov_b64 exec, s[82:83]                                   // 0000000055EC: BEFE0152
	buffer_load_dword v179, v255, s[16:19], 0 idxen            // 0000000055F0: E0502000 8004B3FF
	s_mov_b32 exec_lo, -1                                      // 0000000055F8: BEFE00C1
	s_mov_b32 exec_hi, -1                                      // 0000000055FC: BEFF00C1
	s_mul_i32 s60, 4, s7                                       // 000000005600: 923C0784
	s_cmp_lt_i32 1, s72                                        // 000000005604: BF044881
	s_cselect_b32 s60, s60, 0                                  // 000000005608: 853C803C
	v_add_u32_e32 v252, s60, v252                              // 00000000560C: 69F9F83C
	v_add_u32_e32 v253, s60, v253                              // 000000005610: 69FBFA3C
	v_add_u32_e32 v254, s60, v254                              // 000000005614: 69FDFC3C
	v_add_u32_e32 v255, s60, v255                              // 000000005618: 69FFFE3C
	v_mov_b32_e32 v180, 0                                      // 00000000561C: 7F680280
	s_mov_b64 exec, s[82:83]                                   // 000000005620: BEFE0152
	buffer_load_dword v180, v252, s[16:19], 0 idxen            // 000000005624: E0502000 8004B4FC
	s_mov_b32 exec_lo, -1                                      // 00000000562C: BEFE00C1
	s_mov_b32 exec_hi, -1                                      // 000000005630: BEFF00C1
	v_mov_b32_e32 v181, 0                                      // 000000005634: 7F6A0280
	s_mov_b64 exec, s[82:83]                                   // 000000005638: BEFE0152
	buffer_load_dword v181, v253, s[16:19], 0 idxen            // 00000000563C: E0502000 8004B5FD
	s_mov_b32 exec_lo, -1                                      // 000000005644: BEFE00C1
	s_mov_b32 exec_hi, -1                                      // 000000005648: BEFF00C1
	v_mov_b32_e32 v182, 0                                      // 00000000564C: 7F6C0280
	s_mov_b64 exec, s[82:83]                                   // 000000005650: BEFE0152
	buffer_load_dword v182, v254, s[16:19], 0 idxen            // 000000005654: E0502000 8004B6FE
	s_mov_b32 exec_lo, -1                                      // 00000000565C: BEFE00C1
	s_mov_b32 exec_hi, -1                                      // 000000005660: BEFF00C1
	v_mov_b32_e32 v183, 0                                      // 000000005664: 7F6E0280
	s_mov_b64 exec, s[82:83]                                   // 000000005668: BEFE0152
	buffer_load_dword v183, v255, s[16:19], 0 idxen            // 00000000566C: E0502000 8004B7FF
	s_mov_b32 exec_lo, -1                                      // 000000005674: BEFE00C1
	s_mov_b32 exec_hi, -1                                      // 000000005678: BEFF00C1
	s_mul_i32 s60, 4, s7                                       // 00000000567C: 923C0784
	s_cmp_lt_i32 2, s72                                        // 000000005680: BF044882
	s_cselect_b32 s60, s60, 0                                  // 000000005684: 853C803C
	v_add_u32_e32 v252, s60, v252                              // 000000005688: 69F9F83C
	v_add_u32_e32 v253, s60, v253                              // 00000000568C: 69FBFA3C
	v_add_u32_e32 v254, s60, v254                              // 000000005690: 69FDFC3C
	v_add_u32_e32 v255, s60, v255                              // 000000005694: 69FFFE3C
	s_waitcnt lgkmcnt(0)                                       // 000000005698: BF8CC07F
	s_barrier                                                  // 00000000569C: BF8A0000
	ds_read_b128 a[64:67], v23 offset:17408                    // 0000000056A0: DBFE4400 40000017
	ds_read_b128 a[68:71], v23 offset:17664                    // 0000000056A8: DBFE4500 44000017
	ds_read_b128 a[72:75], v23 offset:26112                    // 0000000056B0: DBFE6600 48000017
	ds_read_b128 a[76:79], v23 offset:26368                    // 0000000056B8: DBFE6700 4C000017
	ds_read_b128 a[16:19], v22                                 // 0000000056C0: DBFE0000 10000016
	ds_read_b128 a[20:23], v22 offset:512                      // 0000000056C8: DBFE0200 14000016
	ds_read_b128 a[24:27], v22 offset:2176                     // 0000000056D0: DBFE0880 18000016
	ds_read_b128 a[28:31], v22 offset:2688                     // 0000000056D8: DBFE0A80 1C000016
	s_waitcnt vmcnt(32) lgkmcnt(0)                             // 0000000056E0: BF8C8070
	s_barrier                                                  // 0000000056E4: BF8A0000
	s_cmp_lt_i32 2, s72                                        // 0000000056E8: BF044882
	s_cbranch_scc1 label_064C                                  // 0000000056EC: BF850010
	v_mov_b32_e32 v184, 0                                      // 0000000056F0: 7F700280
	v_mov_b32_e32 v185, 0                                      // 0000000056F4: 7F720280
	v_mov_b32_e32 v186, 0                                      // 0000000056F8: 7F740280
	v_mov_b32_e32 v187, 0                                      // 0000000056FC: 7F760280
	v_mov_b32_e32 v188, 0                                      // 000000005700: 7F780280
	v_mov_b32_e32 v189, 0                                      // 000000005704: 7F7A0280
	v_mov_b32_e32 v190, 0                                      // 000000005708: 7F7C0280
	v_mov_b32_e32 v191, 0                                      // 00000000570C: 7F7E0280
	v_mov_b32_e32 v192, 0                                      // 000000005710: 7F800280
	v_mov_b32_e32 v193, 0                                      // 000000005714: 7F820280
	v_mov_b32_e32 v194, 0                                      // 000000005718: 7F840280
	v_mov_b32_e32 v195, 0                                      // 00000000571C: 7F860280
	v_mov_b32_e32 v196, 0                                      // 000000005720: 7F880280
	v_mov_b32_e32 v197, 0                                      // 000000005724: 7F8A0280
	v_mov_b32_e32 v198, 0                                      // 000000005728: 7F8C0280
	v_mov_b32_e32 v199, 0                                      // 00000000572C: 7F8E0280

0000000000005730 <label_064C>:
	v_perm_b32 v200, v185, v184, s63                           // 000000005730: D1ED00C8 00FF71B9
	v_perm_b32 v201, v185, v184, s64                           // 000000005738: D1ED00C9 010371B9
	v_perm_b32 v202, v187, v186, s63                           // 000000005740: D1ED00CA 00FF75BB
	v_perm_b32 v203, v187, v186, s64                           // 000000005748: D1ED00CB 010375BB
	v_perm_b32 v204, v189, v188, s63                           // 000000005750: D1ED00CC 00FF79BD
	v_perm_b32 v205, v189, v188, s64                           // 000000005758: D1ED00CD 010379BD
	v_perm_b32 v206, v191, v190, s63                           // 000000005760: D1ED00CE 00FF7DBF
	v_perm_b32 v207, v191, v190, s64                           // 000000005768: D1ED00CF 01037DBF
	v_perm_b32 v208, v193, v192, s63                           // 000000005770: D1ED00D0 00FF81C1
	v_perm_b32 v209, v193, v192, s64                           // 000000005778: D1ED00D1 010381C1
	v_perm_b32 v210, v195, v194, s63                           // 000000005780: D1ED00D2 00FF85C3
	v_perm_b32 v211, v195, v194, s64                           // 000000005788: D1ED00D3 010385C3
	v_perm_b32 v212, v197, v196, s63                           // 000000005790: D1ED00D4 00FF89C5
	v_perm_b32 v213, v197, v196, s64                           // 000000005798: D1ED00D5 010389C5
	v_perm_b32 v214, v199, v198, s63                           // 0000000057A0: D1ED00D6 00FF8DC7
	v_perm_b32 v215, v199, v198, s64                           // 0000000057A8: D1ED00D7 01038DC7
	ds_write_b32 v13, v200 offset:17408                        // 0000000057B0: D81A4400 0000C80D
	ds_write_b32 v13, v201 offset:18464                        // 0000000057B8: D81A4820 0000C90D
	ds_write_b32 v13, v202 offset:17536                        // 0000000057C0: D81A4480 0000CA0D
	ds_write_b32 v13, v203 offset:18592                        // 0000000057C8: D81A48A0 0000CB0D
	ds_write_b32 v13, v204 offset:21760                        // 0000000057D0: D81A5500 0000CC0D
	ds_write_b32 v13, v205 offset:22816                        // 0000000057D8: D81A5920 0000CD0D
	ds_write_b32 v13, v206 offset:21888                        // 0000000057E0: D81A5580 0000CE0D
	ds_write_b32 v13, v207 offset:22944                        // 0000000057E8: D81A59A0 0000CF0D
	ds_write_b32 v13, v208 offset:26112                        // 0000000057F0: D81A6600 0000D00D
	ds_write_b32 v13, v209 offset:27168                        // 0000000057F8: D81A6A20 0000D10D
	ds_write_b32 v13, v210 offset:26240                        // 000000005800: D81A6680 0000D20D
	ds_write_b32 v13, v211 offset:27296                        // 000000005808: D81A6AA0 0000D30D
	ds_write_b32 v13, v212 offset:30464                        // 000000005810: D81A7700 0000D40D
	ds_write_b32 v13, v213 offset:31520                        // 000000005818: D81A7B20 0000D50D
	ds_write_b32 v13, v214 offset:30592                        // 000000005820: D81A7780 0000D60D
	ds_write_b32 v13, v215 offset:31648                        // 000000005828: D81A7BA0 0000D70D
	ds_write_b32 v11, v184                                     // 000000005830: D81A0000 0000B80B
	ds_write_b32 v11, v185 offset:1056                         // 000000005838: D81A0420 0000B90B
	ds_write_b32 v11, v186 offset:128                          // 000000005840: D81A0080 0000BA0B
	ds_write_b32 v11, v187 offset:1184                         // 000000005848: D81A04A0 0000BB0B
	ds_write_b32 v11, v188 offset:4352                         // 000000005850: D81A1100 0000BC0B
	ds_write_b32 v11, v189 offset:5408                         // 000000005858: D81A1520 0000BD0B
	ds_write_b32 v11, v190 offset:4480                         // 000000005860: D81A1180 0000BE0B
	ds_write_b32 v11, v191 offset:5536                         // 000000005868: D81A15A0 0000BF0B
	ds_write_b32 v11, v192 offset:8704                         // 000000005870: D81A2200 0000C00B
	ds_write_b32 v11, v193 offset:9760                         // 000000005878: D81A2620 0000C10B
	ds_write_b32 v11, v194 offset:8832                         // 000000005880: D81A2280 0000C20B
	ds_write_b32 v11, v195 offset:9888                         // 000000005888: D81A26A0 0000C30B
	ds_write_b32 v11, v196 offset:13056                        // 000000005890: D81A3300 0000C40B
	ds_write_b32 v11, v197 offset:14112                        // 000000005898: D81A3720 0000C50B
	ds_write_b32 v11, v198 offset:13184                        // 0000000058A0: D81A3380 0000C60B
	ds_write_b32 v11, v199 offset:14240                        // 0000000058A8: D81A37A0 0000C70B
	v_mov_b32_e32 v184, 0                                      // 0000000058B0: 7F700280
	s_mov_b64 exec, s[82:83]                                   // 0000000058B4: BEFE0152
	buffer_load_dword v184, v252, s[16:19], 0 idxen            // 0000000058B8: E0502000 8004B8FC
	s_mov_b32 exec_lo, -1                                      // 0000000058C0: BEFE00C1
	s_mov_b32 exec_hi, -1                                      // 0000000058C4: BEFF00C1
	v_mov_b32_e32 v185, 0                                      // 0000000058C8: 7F720280
	s_mov_b64 exec, s[82:83]                                   // 0000000058CC: BEFE0152
	buffer_load_dword v185, v253, s[16:19], 0 idxen            // 0000000058D0: E0502000 8004B9FD
	s_mov_b32 exec_lo, -1                                      // 0000000058D8: BEFE00C1
	s_mov_b32 exec_hi, -1                                      // 0000000058DC: BEFF00C1
	v_mov_b32_e32 v186, 0                                      // 0000000058E0: 7F740280
	s_mov_b64 exec, s[82:83]                                   // 0000000058E4: BEFE0152
	buffer_load_dword v186, v254, s[16:19], 0 idxen            // 0000000058E8: E0502000 8004BAFE
	s_mov_b32 exec_lo, -1                                      // 0000000058F0: BEFE00C1
	s_mov_b32 exec_hi, -1                                      // 0000000058F4: BEFF00C1
	v_mov_b32_e32 v187, 0                                      // 0000000058F8: 7F760280
	s_mov_b64 exec, s[82:83]                                   // 0000000058FC: BEFE0152
	buffer_load_dword v187, v255, s[16:19], 0 idxen            // 000000005900: E0502000 8004BBFF
	s_mov_b32 exec_lo, -1                                      // 000000005908: BEFE00C1
	s_mov_b32 exec_hi, -1                                      // 00000000590C: BEFF00C1
	s_mul_i32 s60, 4, s7                                       // 000000005910: 923C0784
	s_cmp_lt_i32 2, s72                                        // 000000005914: BF044882
	s_cselect_b32 s60, s60, 0                                  // 000000005918: 853C803C
	v_add_u32_e32 v252, s60, v252                              // 00000000591C: 69F9F83C
	v_add_u32_e32 v253, s60, v253                              // 000000005920: 69FBFA3C
	v_add_u32_e32 v254, s60, v254                              // 000000005924: 69FDFC3C
	v_add_u32_e32 v255, s60, v255                              // 000000005928: 69FFFE3C
	v_mov_b32_e32 v188, 0                                      // 00000000592C: 7F780280
	s_mov_b64 exec, s[82:83]                                   // 000000005930: BEFE0152
	buffer_load_dword v188, v252, s[16:19], 0 idxen            // 000000005934: E0502000 8004BCFC
	s_mov_b32 exec_lo, -1                                      // 00000000593C: BEFE00C1
	s_mov_b32 exec_hi, -1                                      // 000000005940: BEFF00C1
	v_mov_b32_e32 v189, 0                                      // 000000005944: 7F7A0280
	s_mov_b64 exec, s[82:83]                                   // 000000005948: BEFE0152
	buffer_load_dword v189, v253, s[16:19], 0 idxen            // 00000000594C: E0502000 8004BDFD
	s_mov_b32 exec_lo, -1                                      // 000000005954: BEFE00C1
	s_mov_b32 exec_hi, -1                                      // 000000005958: BEFF00C1
	v_mov_b32_e32 v190, 0                                      // 00000000595C: 7F7C0280
	s_mov_b64 exec, s[82:83]                                   // 000000005960: BEFE0152
	buffer_load_dword v190, v254, s[16:19], 0 idxen            // 000000005964: E0502000 8004BEFE
	s_mov_b32 exec_lo, -1                                      // 00000000596C: BEFE00C1
	s_mov_b32 exec_hi, -1                                      // 000000005970: BEFF00C1
	v_mov_b32_e32 v191, 0                                      // 000000005974: 7F7E0280
	s_mov_b64 exec, s[82:83]                                   // 000000005978: BEFE0152
	buffer_load_dword v191, v255, s[16:19], 0 idxen            // 00000000597C: E0502000 8004BFFF
	s_mov_b32 exec_lo, -1                                      // 000000005984: BEFE00C1
	s_mov_b32 exec_hi, -1                                      // 000000005988: BEFF00C1
	s_mul_i32 s60, 4, s7                                       // 00000000598C: 923C0784
	s_cmp_lt_i32 2, s72                                        // 000000005990: BF044882
	s_cselect_b32 s60, s60, 0                                  // 000000005994: 853C803C
	v_add_u32_e32 v252, s60, v252                              // 000000005998: 69F9F83C
	v_add_u32_e32 v253, s60, v253                              // 00000000599C: 69FBFA3C
	v_add_u32_e32 v254, s60, v254                              // 0000000059A0: 69FDFC3C
	v_add_u32_e32 v255, s60, v255                              // 0000000059A4: 69FFFE3C
	v_mov_b32_e32 v192, 0                                      // 0000000059A8: 7F800280
	s_mov_b64 exec, s[82:83]                                   // 0000000059AC: BEFE0152
	buffer_load_dword v192, v252, s[16:19], 0 idxen            // 0000000059B0: E0502000 8004C0FC
	s_mov_b32 exec_lo, -1                                      // 0000000059B8: BEFE00C1
	s_mov_b32 exec_hi, -1                                      // 0000000059BC: BEFF00C1
	v_mov_b32_e32 v193, 0                                      // 0000000059C0: 7F820280
	s_mov_b64 exec, s[82:83]                                   // 0000000059C4: BEFE0152
	buffer_load_dword v193, v253, s[16:19], 0 idxen            // 0000000059C8: E0502000 8004C1FD
	s_mov_b32 exec_lo, -1                                      // 0000000059D0: BEFE00C1
	s_mov_b32 exec_hi, -1                                      // 0000000059D4: BEFF00C1
	v_mov_b32_e32 v194, 0                                      // 0000000059D8: 7F840280
	s_mov_b64 exec, s[82:83]                                   // 0000000059DC: BEFE0152
	buffer_load_dword v194, v254, s[16:19], 0 idxen            // 0000000059E0: E0502000 8004C2FE
	s_mov_b32 exec_lo, -1                                      // 0000000059E8: BEFE00C1
	s_mov_b32 exec_hi, -1                                      // 0000000059EC: BEFF00C1
	v_mov_b32_e32 v195, 0                                      // 0000000059F0: 7F860280
	s_mov_b64 exec, s[82:83]                                   // 0000000059F4: BEFE0152
	buffer_load_dword v195, v255, s[16:19], 0 idxen            // 0000000059F8: E0502000 8004C3FF
	s_mov_b32 exec_lo, -1                                      // 000000005A00: BEFE00C1
	s_mov_b32 exec_hi, -1                                      // 000000005A04: BEFF00C1
	s_mul_i32 s60, 4, s7                                       // 000000005A08: 923C0784
	s_cmp_lt_i32 2, s72                                        // 000000005A0C: BF044882
	s_cselect_b32 s60, s60, 0                                  // 000000005A10: 853C803C
	v_add_u32_e32 v252, s60, v252                              // 000000005A14: 69F9F83C
	v_add_u32_e32 v253, s60, v253                              // 000000005A18: 69FBFA3C
	v_add_u32_e32 v254, s60, v254                              // 000000005A1C: 69FDFC3C
	v_add_u32_e32 v255, s60, v255                              // 000000005A20: 69FFFE3C
	v_mov_b32_e32 v196, 0                                      // 000000005A24: 7F880280
	s_mov_b64 exec, s[82:83]                                   // 000000005A28: BEFE0152
	buffer_load_dword v196, v252, s[16:19], 0 idxen            // 000000005A2C: E0502000 8004C4FC
	s_mov_b32 exec_lo, -1                                      // 000000005A34: BEFE00C1
	s_mov_b32 exec_hi, -1                                      // 000000005A38: BEFF00C1
	v_mov_b32_e32 v197, 0                                      // 000000005A3C: 7F8A0280
	s_mov_b64 exec, s[82:83]                                   // 000000005A40: BEFE0152
	buffer_load_dword v197, v253, s[16:19], 0 idxen            // 000000005A44: E0502000 8004C5FD
	s_mov_b32 exec_lo, -1                                      // 000000005A4C: BEFE00C1
	s_mov_b32 exec_hi, -1                                      // 000000005A50: BEFF00C1
	v_mov_b32_e32 v198, 0                                      // 000000005A54: 7F8C0280
	s_mov_b64 exec, s[82:83]                                   // 000000005A58: BEFE0152
	buffer_load_dword v198, v254, s[16:19], 0 idxen            // 000000005A5C: E0502000 8004C6FE
	s_mov_b32 exec_lo, -1                                      // 000000005A64: BEFE00C1
	s_mov_b32 exec_hi, -1                                      // 000000005A68: BEFF00C1
	v_mov_b32_e32 v199, 0                                      // 000000005A6C: 7F8E0280
	s_mov_b64 exec, s[82:83]                                   // 000000005A70: BEFE0152
	buffer_load_dword v199, v255, s[16:19], 0 idxen            // 000000005A74: E0502000 8004C7FF
	s_mov_b32 exec_lo, -1                                      // 000000005A7C: BEFE00C1
	s_mov_b32 exec_hi, -1                                      // 000000005A80: BEFF00C1
	s_mul_i32 s60, 4, s7                                       // 000000005A84: 923C0784
	s_cmp_lt_i32 3, s72                                        // 000000005A88: BF044883
	s_cselect_b32 s60, s60, 0                                  // 000000005A8C: 853C803C
	v_add_u32_e32 v252, s60, v252                              // 000000005A90: 69F9F83C
	v_add_u32_e32 v253, s60, v253                              // 000000005A94: 69FBFA3C
	v_add_u32_e32 v254, s60, v254                              // 000000005A98: 69FDFC3C
	v_add_u32_e32 v255, s60, v255                              // 000000005A9C: 69FFFE3C
	s_waitcnt lgkmcnt(0)                                       // 000000005AA0: BF8CC07F
	s_barrier                                                  // 000000005AA4: BF8A0000
	ds_read_b128 a[80:83], v23 offset:17408                    // 000000005AA8: DBFE4400 50000017
	ds_read_b128 a[84:87], v23 offset:17664                    // 000000005AB0: DBFE4500 54000017
	ds_read_b128 a[88:91], v23 offset:26112                    // 000000005AB8: DBFE6600 58000017
	ds_read_b128 a[92:95], v23 offset:26368                    // 000000005AC0: DBFE6700 5C000017
	ds_read_b128 a[32:35], v22                                 // 000000005AC8: DBFE0000 20000016
	ds_read_b128 a[36:39], v22 offset:512                      // 000000005AD0: DBFE0200 24000016
	ds_read_b128 a[40:43], v22 offset:2176                     // 000000005AD8: DBFE0880 28000016
	ds_read_b128 a[44:47], v22 offset:2688                     // 000000005AE0: DBFE0A80 2C000016
	s_waitcnt vmcnt(32) lgkmcnt(0)                             // 000000005AE8: BF8C8070
	s_barrier                                                  // 000000005AEC: BF8A0000
	s_cmp_lt_i32 0, s72                                        // 000000005AF0: BF044880
	s_cbranch_scc1 label_074E                                  // 000000005AF4: BF850010
	v_mov_b32_e32 v152, 0                                      // 000000005AF8: 7F300280
	v_mov_b32_e32 v153, 0                                      // 000000005AFC: 7F320280
	v_mov_b32_e32 v154, 0                                      // 000000005B00: 7F340280
	v_mov_b32_e32 v155, 0                                      // 000000005B04: 7F360280
	v_mov_b32_e32 v156, 0                                      // 000000005B08: 7F380280
	v_mov_b32_e32 v157, 0                                      // 000000005B0C: 7F3A0280
	v_mov_b32_e32 v158, 0                                      // 000000005B10: 7F3C0280
	v_mov_b32_e32 v159, 0                                      // 000000005B14: 7F3E0280
	v_mov_b32_e32 v160, 0                                      // 000000005B18: 7F400280
	v_mov_b32_e32 v161, 0                                      // 000000005B1C: 7F420280
	v_mov_b32_e32 v162, 0                                      // 000000005B20: 7F440280
	v_mov_b32_e32 v163, 0                                      // 000000005B24: 7F460280
	v_mov_b32_e32 v164, 0                                      // 000000005B28: 7F480280
	v_mov_b32_e32 v165, 0                                      // 000000005B2C: 7F4A0280
	v_mov_b32_e32 v166, 0                                      // 000000005B30: 7F4C0280
	v_mov_b32_e32 v167, 0                                      // 000000005B34: 7F4E0280

0000000000005b38 <label_074E>:
	ds_write_b32 v11, v152                                     // 000000005B38: D81A0000 0000980B
	ds_write_b32 v11, v153 offset:1056                         // 000000005B40: D81A0420 0000990B
	ds_write_b32 v11, v154 offset:128                          // 000000005B48: D81A0080 00009A0B
	ds_write_b32 v11, v155 offset:1184                         // 000000005B50: D81A04A0 00009B0B
	ds_write_b32 v11, v156 offset:4352                         // 000000005B58: D81A1100 00009C0B
	ds_write_b32 v11, v157 offset:5408                         // 000000005B60: D81A1520 00009D0B
	ds_write_b32 v11, v158 offset:4480                         // 000000005B68: D81A1180 00009E0B
	ds_write_b32 v11, v159 offset:5536                         // 000000005B70: D81A15A0 00009F0B
	ds_write_b32 v11, v160 offset:8704                         // 000000005B78: D81A2200 0000A00B
	ds_write_b32 v11, v161 offset:9760                         // 000000005B80: D81A2620 0000A10B
	ds_write_b32 v11, v162 offset:8832                         // 000000005B88: D81A2280 0000A20B
	ds_write_b32 v11, v163 offset:9888                         // 000000005B90: D81A26A0 0000A30B
	ds_write_b32 v11, v164 offset:13056                        // 000000005B98: D81A3300 0000A40B
	ds_write_b32 v11, v165 offset:14112                        // 000000005BA0: D81A3720 0000A50B
	ds_write_b32 v11, v166 offset:13184                        // 000000005BA8: D81A3380 0000A60B
	ds_write_b32 v11, v167 offset:14240                        // 000000005BB0: D81A37A0 0000A70B
	s_mov_b32 s71, s5                                          // 000000005BB8: BEC70005
	v_lshrrev_b32_e32 v28, 4, v0                               // 000000005BBC: 20380084
	v_and_b32_e32 v29, 1, v28                                  // 000000005BC0: 263A3881
	v_lshlrev_b32_e32 v29, 1, v29                              // 000000005BC4: 243A3A81
	v_mul_i32_i24_e32 v29, s71, v29                            // 000000005BC8: 0C3A3A47
	v_and_b32_e32 v30, 2, v28                                  // 000000005BCC: 263C3882
	v_lshlrev_b32_e32 v30, 5, v30                              // 000000005BD0: 243C3C85
	v_add_u32_e32 v29, v30, v29                                // 000000005BD4: 683A3B1E
	v_and_b32_e32 v28, 15, v0                                  // 000000005BD8: 2638008F
	v_lshlrev_b32_e32 v28, 2, v28                              // 000000005BDC: 24383882
	v_add_u32_e32 v1, v28, v29                                 // 000000005BE0: 68023B1C
	s_and_b32 s60, 1, s46                                      // 000000005BE4: 863C2E81
	s_mul_i32 s60, s60, s71                                    // 000000005BE8: 923C473C
	s_mul_i32 s60, s60, 8                                      // 000000005BEC: 923C883C
	s_lshr_b32 s61, s46, 1                                     // 000000005BF0: 8F3D812E
	s_mul_i32 s61, s61, 0x80                                   // 000000005BF4: 923DFF3D 00000080
	s_add_u32 s60, s60, s61                                    // 000000005BFC: 803C3D3C
	v_add_u32_e32 v1, s60, v1                                  // 000000005C00: 6802023C
	v_add_u32_e32 v2, s71, v1                                  // 000000005C04: 68040247
	s_mul_i32 s60, 4, s71                                      // 000000005C08: 923C4784
	v_add_u32_e32 v3, s60, v1                                  // 000000005C0C: 6806023C
	v_add_u32_e32 v4, s60, v2                                  // 000000005C10: 6808043C
	s_mov_b32 s71, s51                                         // 000000005C14: BEC70033
	v_lshrrev_b32_e32 v28, 4, v0                               // 000000005C18: 20380084
	v_and_b32_e32 v29, 1, v28                                  // 000000005C1C: 263A3881
	v_lshlrev_b32_e32 v29, 1, v29                              // 000000005C20: 243A3A81
	v_mul_i32_i24_e32 v29, s71, v29                            // 000000005C24: 0C3A3A47
	v_and_b32_e32 v30, 2, v28                                  // 000000005C28: 263C3882
	v_lshlrev_b32_e32 v30, 5, v30                              // 000000005C2C: 243C3C85
	v_add_u32_e32 v29, v30, v29                                // 000000005C30: 683A3B1E
	v_and_b32_e32 v28, 15, v0                                  // 000000005C34: 2638008F
	v_lshlrev_b32_e32 v28, 2, v28                              // 000000005C38: 24383882
	v_add_u32_e32 v252, v28, v29                               // 000000005C3C: 69F83B1C
	s_and_b32 s60, 1, s46                                      // 000000005C40: 863C2E81
	s_mul_i32 s60, s60, s71                                    // 000000005C44: 923C473C
	s_mul_i32 s60, s60, 8                                      // 000000005C48: 923C883C
	s_lshr_b32 s61, s46, 1                                     // 000000005C4C: 8F3D812E
	s_mul_i32 s61, s61, 0x80                                   // 000000005C50: 923DFF3D 00000080
	s_add_u32 s60, s60, s61                                    // 000000005C58: 803C3D3C
	v_add_u32_e32 v252, s60, v252                              // 000000005C5C: 69F9F83C
	v_add_u32_e32 v253, s71, v252                              // 000000005C60: 69FBF847
	s_mul_i32 s60, 4, s71                                      // 000000005C64: 923C4784
	v_add_u32_e32 v254, s60, v252                              // 000000005C68: 69FDF83C
	v_add_u32_e32 v255, s60, v253                              // 000000005C6C: 69FFFA3C
	v_lshrrev_b32_e32 v1, 2, v1                                // 000000005C70: 20020282
	v_lshrrev_b32_e32 v2, 2, v2                                // 000000005C74: 20040482
	v_lshrrev_b32_e32 v3, 2, v3                                // 000000005C78: 20060682
	v_lshrrev_b32_e32 v4, 2, v4                                // 000000005C7C: 20080882
	v_lshrrev_b32_e32 v252, 2, v252                            // 000000005C80: 21F9F882
	v_lshrrev_b32_e32 v253, 2, v253                            // 000000005C84: 21FBFA82
	v_lshrrev_b32_e32 v254, 2, v254                            // 000000005C88: 21FDFC82
	v_lshrrev_b32_e32 v255, 2, v255                            // 000000005C8C: 21FFFE82
	v_mov_b32_e32 v32, 0                                       // 000000005C90: 7E400280
	s_mov_b64 exec, s[82:83]                                   // 000000005C94: BEFE0152
	buffer_load_dword v32, v1, s[8:11], 0 idxen                // 000000005C98: E0502000 80022001
	s_mov_b32 exec_lo, -1                                      // 000000005CA0: BEFE00C1
	s_mov_b32 exec_hi, -1                                      // 000000005CA4: BEFF00C1
	v_mov_b32_e32 v33, 0                                       // 000000005CA8: 7E420280
	s_mov_b64 exec, s[82:83]                                   // 000000005CAC: BEFE0152
	buffer_load_dword v33, v2, s[8:11], 0 idxen                // 000000005CB0: E0502000 80022102
	s_mov_b32 exec_lo, -1                                      // 000000005CB8: BEFE00C1
	s_mov_b32 exec_hi, -1                                      // 000000005CBC: BEFF00C1
	v_mov_b32_e32 v34, 0                                       // 000000005CC0: 7E440280
	s_mov_b64 exec, s[82:83]                                   // 000000005CC4: BEFE0152
	buffer_load_dword v34, v3, s[8:11], 0 idxen                // 000000005CC8: E0502000 80022203
	s_mov_b32 exec_lo, -1                                      // 000000005CD0: BEFE00C1
	s_mov_b32 exec_hi, -1                                      // 000000005CD4: BEFF00C1
	v_mov_b32_e32 v35, 0                                       // 000000005CD8: 7E460280
	s_mov_b64 exec, s[82:83]                                   // 000000005CDC: BEFE0152
	buffer_load_dword v35, v4, s[8:11], 0 idxen                // 000000005CE0: E0502000 80022304
	s_mov_b32 exec_lo, -1                                      // 000000005CE8: BEFE00C1
	s_mov_b32 exec_hi, -1                                      // 000000005CEC: BEFF00C1
	v_mov_b32_e32 v40, 0                                       // 000000005CF0: 7E500280
	s_mov_b64 exec, s[82:83]                                   // 000000005CF4: BEFE0152
	buffer_load_dword v40, v252, s[20:23], 0 idxen             // 000000005CF8: E0502000 800528FC
	s_mov_b32 exec_lo, -1                                      // 000000005D00: BEFE00C1
	s_mov_b32 exec_hi, -1                                      // 000000005D04: BEFF00C1
	v_mov_b32_e32 v41, 0                                       // 000000005D08: 7E520280
	s_mov_b64 exec, s[82:83]                                   // 000000005D0C: BEFE0152
	buffer_load_dword v41, v253, s[20:23], 0 idxen             // 000000005D10: E0502000 800529FD
	s_mov_b32 exec_lo, -1                                      // 000000005D18: BEFE00C1
	s_mov_b32 exec_hi, -1                                      // 000000005D1C: BEFF00C1
	v_mov_b32_e32 v42, 0                                       // 000000005D20: 7E540280
	s_mov_b64 exec, s[82:83]                                   // 000000005D24: BEFE0152
	buffer_load_dword v42, v254, s[20:23], 0 idxen             // 000000005D28: E0502000 80052AFE
	s_mov_b32 exec_lo, -1                                      // 000000005D30: BEFE00C1
	s_mov_b32 exec_hi, -1                                      // 000000005D34: BEFF00C1
	v_mov_b32_e32 v43, 0                                       // 000000005D38: 7E560280
	s_mov_b64 exec, s[82:83]                                   // 000000005D3C: BEFE0152
	buffer_load_dword v43, v255, s[20:23], 0 idxen             // 000000005D40: E0502000 80052BFF
	s_mov_b32 exec_lo, -1                                      // 000000005D48: BEFE00C1
	s_mov_b32 exec_hi, -1                                      // 000000005D4C: BEFF00C1
	s_waitcnt lgkmcnt(0)                                       // 000000005D50: BF8CC07F
	s_barrier                                                  // 000000005D54: BF8A0000
	ds_read_b128 a[96:99], v22                                 // 000000005D58: DBFE0000 60000016
	ds_read_b128 a[100:103], v22 offset:512                    // 000000005D60: DBFE0200 64000016
	ds_read_b128 a[104:107], v22 offset:2176                   // 000000005D68: DBFE0880 68000016
	ds_read_b128 a[108:111], v22 offset:2688                   // 000000005D70: DBFE0A80 6C000016
	v_add_u32_e32 v1, s68, v1                                  // 000000005D78: 68020244
	v_add_u32_e32 v2, s68, v2                                  // 000000005D7C: 68040444
	v_add_u32_e32 v3, s68, v3                                  // 000000005D80: 68060644
	v_add_u32_e32 v4, s68, v4                                  // 000000005D84: 68080844
	v_add_u32_e32 v252, s100, v252                             // 000000005D88: 69F9F864
	v_add_u32_e32 v253, s100, v253                             // 000000005D8C: 69FBFA64
	v_add_u32_e32 v254, s100, v254                             // 000000005D90: 69FDFC64
	v_add_u32_e32 v255, s100, v255                             // 000000005D94: 69FFFE64
	s_waitcnt vmcnt(24) lgkmcnt(0)                             // 000000005D98: BF8C4078
	s_barrier                                                  // 000000005D9C: BF8A0000
	s_cmp_lt_i32 1, s72                                        // 000000005DA0: BF044881
	s_cbranch_scc1 label_07FA                                  // 000000005DA4: BF850010
	v_mov_b32_e32 v168, 0                                      // 000000005DA8: 7F500280
	v_mov_b32_e32 v169, 0                                      // 000000005DAC: 7F520280
	v_mov_b32_e32 v170, 0                                      // 000000005DB0: 7F540280
	v_mov_b32_e32 v171, 0                                      // 000000005DB4: 7F560280
	v_mov_b32_e32 v172, 0                                      // 000000005DB8: 7F580280
	v_mov_b32_e32 v173, 0                                      // 000000005DBC: 7F5A0280
	v_mov_b32_e32 v174, 0                                      // 000000005DC0: 7F5C0280
	v_mov_b32_e32 v175, 0                                      // 000000005DC4: 7F5E0280
	v_mov_b32_e32 v176, 0                                      // 000000005DC8: 7F600280
	v_mov_b32_e32 v177, 0                                      // 000000005DCC: 7F620280
	v_mov_b32_e32 v178, 0                                      // 000000005DD0: 7F640280
	v_mov_b32_e32 v179, 0                                      // 000000005DD4: 7F660280
	v_mov_b32_e32 v180, 0                                      // 000000005DD8: 7F680280
	v_mov_b32_e32 v181, 0                                      // 000000005DDC: 7F6A0280
	v_mov_b32_e32 v182, 0                                      // 000000005DE0: 7F6C0280
	v_mov_b32_e32 v183, 0                                      // 000000005DE4: 7F6E0280

0000000000005de8 <label_07FA>:
	ds_write_b32 v11, v168                                     // 000000005DE8: D81A0000 0000A80B
	ds_write_b32 v11, v169 offset:1056                         // 000000005DF0: D81A0420 0000A90B
	ds_write_b32 v11, v170 offset:128                          // 000000005DF8: D81A0080 0000AA0B
	ds_write_b32 v11, v171 offset:1184                         // 000000005E00: D81A04A0 0000AB0B
	ds_write_b32 v11, v172 offset:4352                         // 000000005E08: D81A1100 0000AC0B
	ds_write_b32 v11, v173 offset:5408                         // 000000005E10: D81A1520 0000AD0B
	ds_write_b32 v11, v174 offset:4480                         // 000000005E18: D81A1180 0000AE0B
	ds_write_b32 v11, v175 offset:5536                         // 000000005E20: D81A15A0 0000AF0B
	ds_write_b32 v11, v176 offset:8704                         // 000000005E28: D81A2200 0000B00B
	ds_write_b32 v11, v177 offset:9760                         // 000000005E30: D81A2620 0000B10B
	ds_write_b32 v11, v178 offset:8832                         // 000000005E38: D81A2280 0000B20B
	ds_write_b32 v11, v179 offset:9888                         // 000000005E40: D81A26A0 0000B30B
	ds_write_b32 v11, v180 offset:13056                        // 000000005E48: D81A3300 0000B40B
	ds_write_b32 v11, v181 offset:14112                        // 000000005E50: D81A3720 0000B50B
	ds_write_b32 v11, v182 offset:13184                        // 000000005E58: D81A3380 0000B60B
	ds_write_b32 v11, v183 offset:14240                        // 000000005E60: D81A37A0 0000B70B
	v_mov_b32_e32 v36, 0                                       // 000000005E68: 7E480280
	s_mov_b64 exec, s[82:83]                                   // 000000005E6C: BEFE0152
	buffer_load_dword v36, v1, s[8:11], 0 idxen                // 000000005E70: E0502000 80022401
	s_mov_b32 exec_lo, -1                                      // 000000005E78: BEFE00C1
	s_mov_b32 exec_hi, -1                                      // 000000005E7C: BEFF00C1
	v_mov_b32_e32 v37, 0                                       // 000000005E80: 7E4A0280
	s_mov_b64 exec, s[82:83]                                   // 000000005E84: BEFE0152
	buffer_load_dword v37, v2, s[8:11], 0 idxen                // 000000005E88: E0502000 80022502
	s_mov_b32 exec_lo, -1                                      // 000000005E90: BEFE00C1
	s_mov_b32 exec_hi, -1                                      // 000000005E94: BEFF00C1
	v_mov_b32_e32 v38, 0                                       // 000000005E98: 7E4C0280
	s_mov_b64 exec, s[82:83]                                   // 000000005E9C: BEFE0152
	buffer_load_dword v38, v3, s[8:11], 0 idxen                // 000000005EA0: E0502000 80022603
	s_mov_b32 exec_lo, -1                                      // 000000005EA8: BEFE00C1
	s_mov_b32 exec_hi, -1                                      // 000000005EAC: BEFF00C1
	v_mov_b32_e32 v39, 0                                       // 000000005EB0: 7E4E0280
	s_mov_b64 exec, s[82:83]                                   // 000000005EB4: BEFE0152
	buffer_load_dword v39, v4, s[8:11], 0 idxen                // 000000005EB8: E0502000 80022704
	s_mov_b32 exec_lo, -1                                      // 000000005EC0: BEFE00C1
	s_mov_b32 exec_hi, -1                                      // 000000005EC4: BEFF00C1
	v_mov_b32_e32 v44, 0                                       // 000000005EC8: 7E580280
	s_mov_b64 exec, s[82:83]                                   // 000000005ECC: BEFE0152
	buffer_load_dword v44, v252, s[20:23], 0 idxen             // 000000005ED0: E0502000 80052CFC
	s_mov_b32 exec_lo, -1                                      // 000000005ED8: BEFE00C1
	s_mov_b32 exec_hi, -1                                      // 000000005EDC: BEFF00C1
	v_mov_b32_e32 v45, 0                                       // 000000005EE0: 7E5A0280
	s_mov_b64 exec, s[82:83]                                   // 000000005EE4: BEFE0152
	buffer_load_dword v45, v253, s[20:23], 0 idxen             // 000000005EE8: E0502000 80052DFD
	s_mov_b32 exec_lo, -1                                      // 000000005EF0: BEFE00C1
	s_mov_b32 exec_hi, -1                                      // 000000005EF4: BEFF00C1
	v_mov_b32_e32 v46, 0                                       // 000000005EF8: 7E5C0280
	s_mov_b64 exec, s[82:83]                                   // 000000005EFC: BEFE0152
	buffer_load_dword v46, v254, s[20:23], 0 idxen             // 000000005F00: E0502000 80052EFE
	s_mov_b32 exec_lo, -1                                      // 000000005F08: BEFE00C1
	s_mov_b32 exec_hi, -1                                      // 000000005F0C: BEFF00C1
	v_mov_b32_e32 v47, 0                                       // 000000005F10: 7E5E0280
	s_mov_b64 exec, s[82:83]                                   // 000000005F14: BEFE0152
	buffer_load_dword v47, v255, s[20:23], 0 idxen             // 000000005F18: E0502000 80052FFF
	s_mov_b32 exec_lo, -1                                      // 000000005F20: BEFE00C1
	s_mov_b32 exec_hi, -1                                      // 000000005F24: BEFF00C1
	s_waitcnt lgkmcnt(0)                                       // 000000005F28: BF8CC07F
	s_barrier                                                  // 000000005F2C: BF8A0000
	ds_read_b128 a[112:115], v22                               // 000000005F30: DBFE0000 70000016
	ds_read_b128 a[116:119], v22 offset:512                    // 000000005F38: DBFE0200 74000016
	ds_read_b128 a[120:123], v22 offset:2176                   // 000000005F40: DBFE0880 78000016
	ds_read_b128 a[124:127], v22 offset:2688                   // 000000005F48: DBFE0A80 7C000016
	v_add_u32_e32 v1, s68, v1                                  // 000000005F50: 68020244
	v_add_u32_e32 v2, s68, v2                                  // 000000005F54: 68040444
	v_add_u32_e32 v3, s68, v3                                  // 000000005F58: 68060644
	v_add_u32_e32 v4, s68, v4                                  // 000000005F5C: 68080844
	v_add_u32_e32 v252, s100, v252                             // 000000005F60: 69F9F864
	v_add_u32_e32 v253, s100, v253                             // 000000005F64: 69FBFA64
	v_add_u32_e32 v254, s100, v254                             // 000000005F68: 69FDFC64
	v_add_u32_e32 v255, s100, v255                             // 000000005F6C: 69FFFE64
	s_waitcnt vmcnt(16) lgkmcnt(0)                             // 000000005F70: BF8C4070
	s_barrier                                                  // 000000005F74: BF8A0000
	s_cmp_lt_i32 2, s72                                        // 000000005F78: BF044882
	s_cbranch_scc1 label_0870                                  // 000000005F7C: BF850010
	v_mov_b32_e32 v184, 0                                      // 000000005F80: 7F700280
	v_mov_b32_e32 v185, 0                                      // 000000005F84: 7F720280
	v_mov_b32_e32 v186, 0                                      // 000000005F88: 7F740280
	v_mov_b32_e32 v187, 0                                      // 000000005F8C: 7F760280
	v_mov_b32_e32 v188, 0                                      // 000000005F90: 7F780280
	v_mov_b32_e32 v189, 0                                      // 000000005F94: 7F7A0280
	v_mov_b32_e32 v190, 0                                      // 000000005F98: 7F7C0280
	v_mov_b32_e32 v191, 0                                      // 000000005F9C: 7F7E0280
	v_mov_b32_e32 v192, 0                                      // 000000005FA0: 7F800280
	v_mov_b32_e32 v193, 0                                      // 000000005FA4: 7F820280
	v_mov_b32_e32 v194, 0                                      // 000000005FA8: 7F840280
	v_mov_b32_e32 v195, 0                                      // 000000005FAC: 7F860280
	v_mov_b32_e32 v196, 0                                      // 000000005FB0: 7F880280
	v_mov_b32_e32 v197, 0                                      // 000000005FB4: 7F8A0280
	v_mov_b32_e32 v198, 0                                      // 000000005FB8: 7F8C0280
	v_mov_b32_e32 v199, 0                                      // 000000005FBC: 7F8E0280

0000000000005fc0 <label_0870>:
	ds_write_b32 v11, v184                                     // 000000005FC0: D81A0000 0000B80B
	ds_write_b32 v11, v185 offset:1056                         // 000000005FC8: D81A0420 0000B90B
	ds_write_b32 v11, v186 offset:128                          // 000000005FD0: D81A0080 0000BA0B
	ds_write_b32 v11, v187 offset:1184                         // 000000005FD8: D81A04A0 0000BB0B
	ds_write_b32 v11, v188 offset:4352                         // 000000005FE0: D81A1100 0000BC0B
	ds_write_b32 v11, v189 offset:5408                         // 000000005FE8: D81A1520 0000BD0B
	ds_write_b32 v11, v190 offset:4480                         // 000000005FF0: D81A1180 0000BE0B
	ds_write_b32 v11, v191 offset:5536                         // 000000005FF8: D81A15A0 0000BF0B
	ds_write_b32 v11, v192 offset:8704                         // 000000006000: D81A2200 0000C00B
	ds_write_b32 v11, v193 offset:9760                         // 000000006008: D81A2620 0000C10B
	ds_write_b32 v11, v194 offset:8832                         // 000000006010: D81A2280 0000C20B
	ds_write_b32 v11, v195 offset:9888                         // 000000006018: D81A26A0 0000C30B
	ds_write_b32 v11, v196 offset:13056                        // 000000006020: D81A3300 0000C40B
	ds_write_b32 v11, v197 offset:14112                        // 000000006028: D81A3720 0000C50B
	ds_write_b32 v11, v198 offset:13184                        // 000000006030: D81A3380 0000C60B
	ds_write_b32 v11, v199 offset:14240                        // 000000006038: D81A37A0 0000C70B
	s_waitcnt lgkmcnt(0)                                       // 000000006040: BF8CC07F
	s_barrier                                                  // 000000006044: BF8A0000
	ds_read_b128 a[128:131], v22                               // 000000006048: DBFE0000 80000016
	ds_read_b128 a[132:135], v22 offset:512                    // 000000006050: DBFE0200 84000016
	ds_read_b128 a[136:139], v22 offset:2176                   // 000000006058: DBFE0880 88000016
	ds_read_b128 a[140:143], v22 offset:2688                   // 000000006060: DBFE0A80 8C000016
	s_waitcnt vmcnt(8) lgkmcnt(0)                              // 000000006068: BF8C0078
	s_barrier                                                  // 00000000606C: BF8A0000
	buffer_load_dword v9, s[24:27], 0 idxen lds                // 000000006070: E0512000 80060009
	s_mov_b32 m0, s81                                          // 000000006078: BEFC0051
	v_add_u32_e32 v9, s69, v9                                  // 00000000607C: 68121245
	v_perm_b32 v84, v33, v32, s63                              // 000000006080: D1ED0054 00FE4121
	v_perm_b32 v85, v33, v32, s64                              // 000000006088: D1ED0055 01024121
	v_perm_b32 v86, v35, v34, s63                              // 000000006090: D1ED0056 00FE4523
	v_perm_b32 v87, v35, v34, s64                              // 000000006098: D1ED0057 01024523
	ds_write_b32 v13, v84 offset:4352                          // 0000000060A0: D81A1100 0000540D
	ds_write_b32 v13, v85 offset:5408                          // 0000000060A8: D81A1520 0000550D
	ds_write_b32 v13, v86 offset:4480                          // 0000000060B0: D81A1180 0000560D
	ds_write_b32 v13, v87 offset:5536                          // 0000000060B8: D81A15A0 0000570D
	ds_write_b32 v11, v32                                      // 0000000060C0: D81A0000 0000200B
	ds_write_b32 v11, v33 offset:1056                          // 0000000060C8: D81A0420 0000210B
	ds_write_b32 v11, v34 offset:128                           // 0000000060D0: D81A0080 0000220B
	ds_write_b32 v11, v35 offset:1184                          // 0000000060D8: D81A04A0 0000230B
	buffer_load_dword v9, s[24:27], 0 idxen lds                // 0000000060E0: E0512000 80060009
	s_mov_b32 m0, s80                                          // 0000000060E8: BEFC0050
	v_add_u32_e32 v9, s69, v9                                  // 0000000060EC: 68121245
	v_perm_b32 v88, v41, v40, s63                              // 0000000060F0: D1ED0058 00FE5129
	v_perm_b32 v89, v41, v40, s64                              // 0000000060F8: D1ED0059 01025129
	v_perm_b32 v90, v43, v42, s63                              // 000000006100: D1ED005A 00FE552B
	v_perm_b32 v91, v43, v42, s64                              // 000000006108: D1ED005B 0102552B
	ds_write_b32 v13, v88 offset:13056                         // 000000006110: D81A3300 0000580D
	ds_write_b32 v13, v89 offset:14112                         // 000000006118: D81A3720 0000590D
	ds_write_b32 v13, v90 offset:13184                         // 000000006120: D81A3380 00005A0D
	ds_write_b32 v13, v91 offset:14240                         // 000000006128: D81A37A0 00005B0D
	ds_write_b32 v11, v40 offset:8704                          // 000000006130: D81A2200 0000280B
	ds_write_b32 v11, v41 offset:9760                          // 000000006138: D81A2620 0000290B
	ds_write_b32 v11, v42 offset:8832                          // 000000006140: D81A2280 00002A0B
	ds_write_b32 v11, v43 offset:9888                          // 000000006148: D81A26A0 00002B0B
	s_waitcnt vmcnt(1) lgkmcnt(0)                              // 000000006150: BF8C0071
	s_barrier                                                  // 000000006154: BF8A0000
	ds_read_b128 a[144:147], v10                               // 000000006158: DBFE0000 9000000A
	ds_read_b128 a[148:151], v10 offset:512                    // 000000006160: DBFE0200 9400000A
	ds_read_b128 a[152:155], v10 offset:2176                   // 000000006168: DBFE0880 9800000A
	ds_read_b128 a[156:159], v10 offset:2688                   // 000000006170: DBFE0A80 9C00000A
	ds_read_b128 v[92:95], v10 offset:8704                     // 000000006178: D9FE2200 5C00000A
	ds_read_b128 v[96:99], v10 offset:9216                     // 000000006180: D9FE2400 6000000A
	ds_read_b128 v[100:103], v10 offset:10880                  // 000000006188: D9FE2A80 6400000A
	ds_read_b128 v[104:107], v10 offset:11392                  // 000000006190: D9FE2C80 6800000A
	ds_read_b32 v124, v21 offset:50688                         // 000000006198: D86CC600 7C000015
	ds_read_b32 v150, v21 offset:50944                         // 0000000061A0: D86CC700 96000015
	v_accvgpr_write_b32 a160, 0                                // 0000000061A8: D3D940A0 18000080
	v_mov_b32_e32 v152, 0                                      // 0000000061B0: 7F300280
	v_accvgpr_write_b32 a161, 0                                // 0000000061B4: D3D940A1 18000080
	v_mov_b32_e32 v153, 0                                      // 0000000061BC: 7F320280
	v_accvgpr_write_b32 a162, 0                                // 0000000061C0: D3D940A2 18000080
	v_mov_b32_e32 v154, 0                                      // 0000000061C8: 7F340280
	v_accvgpr_write_b32 a163, 0                                // 0000000061CC: D3D940A3 18000080
	v_mov_b32_e32 v155, 0                                      // 0000000061D4: 7F360280
	v_accvgpr_write_b32 a164, 0                                // 0000000061D8: D3D940A4 18000080
	v_mov_b32_e32 v156, 0                                      // 0000000061E0: 7F380280
	v_accvgpr_write_b32 a165, 0                                // 0000000061E4: D3D940A5 18000080
	v_mov_b32_e32 v157, 0                                      // 0000000061EC: 7F3A0280
	v_accvgpr_write_b32 a166, 0                                // 0000000061F0: D3D940A6 18000080
	v_mov_b32_e32 v158, 0                                      // 0000000061F8: 7F3C0280
	v_accvgpr_write_b32 a167, 0                                // 0000000061FC: D3D940A7 18000080
	v_mov_b32_e32 v159, 0                                      // 000000006204: 7F3E0280
	v_accvgpr_write_b32 a168, 0                                // 000000006208: D3D940A8 18000080
	v_mov_b32_e32 v160, 0                                      // 000000006210: 7F400280
	v_accvgpr_write_b32 a169, 0                                // 000000006214: D3D940A9 18000080
	v_mov_b32_e32 v161, 0                                      // 00000000621C: 7F420280
	v_accvgpr_write_b32 a170, 0                                // 000000006220: D3D940AA 18000080
	v_mov_b32_e32 v162, 0                                      // 000000006228: 7F440280
	v_accvgpr_write_b32 a171, 0                                // 00000000622C: D3D940AB 18000080
	v_mov_b32_e32 v163, 0                                      // 000000006234: 7F460280
	v_accvgpr_write_b32 a172, 0                                // 000000006238: D3D940AC 18000080
	v_mov_b32_e32 v164, 0                                      // 000000006240: 7F480280
	v_accvgpr_write_b32 a173, 0                                // 000000006244: D3D940AD 18000080
	v_mov_b32_e32 v165, 0                                      // 00000000624C: 7F4A0280
	v_accvgpr_write_b32 a174, 0                                // 000000006250: D3D940AE 18000080
	v_mov_b32_e32 v166, 0                                      // 000000006258: 7F4C0280
	v_accvgpr_write_b32 a175, 0                                // 00000000625C: D3D940AF 18000080
	v_mov_b32_e32 v167, 0                                      // 000000006264: 7F4E0280
	v_accvgpr_write_b32 a176, 0                                // 000000006268: D3D940B0 18000080
	v_mov_b32_e32 v168, 0                                      // 000000006270: 7F500280
	v_accvgpr_write_b32 a177, 0                                // 000000006274: D3D940B1 18000080
	v_mov_b32_e32 v169, 0                                      // 00000000627C: 7F520280
	v_accvgpr_write_b32 a178, 0                                // 000000006280: D3D940B2 18000080
	v_mov_b32_e32 v170, 0                                      // 000000006288: 7F540280
	v_accvgpr_write_b32 a179, 0                                // 00000000628C: D3D940B3 18000080
	v_mov_b32_e32 v171, 0                                      // 000000006294: 7F560280
	v_accvgpr_write_b32 a180, 0                                // 000000006298: D3D940B4 18000080
	v_mov_b32_e32 v172, 0                                      // 0000000062A0: 7F580280
	v_accvgpr_write_b32 a181, 0                                // 0000000062A4: D3D940B5 18000080
	v_mov_b32_e32 v173, 0                                      // 0000000062AC: 7F5A0280
	v_accvgpr_write_b32 a182, 0                                // 0000000062B0: D3D940B6 18000080
	v_mov_b32_e32 v174, 0                                      // 0000000062B8: 7F5C0280
	v_accvgpr_write_b32 a183, 0                                // 0000000062BC: D3D940B7 18000080
	v_mov_b32_e32 v175, 0                                      // 0000000062C4: 7F5E0280
	v_accvgpr_write_b32 a184, 0                                // 0000000062C8: D3D940B8 18000080
	v_mov_b32_e32 v176, 0                                      // 0000000062D0: 7F600280
	v_accvgpr_write_b32 a185, 0                                // 0000000062D4: D3D940B9 18000080
	v_mov_b32_e32 v177, 0                                      // 0000000062DC: 7F620280
	v_accvgpr_write_b32 a186, 0                                // 0000000062E0: D3D940BA 18000080
	v_mov_b32_e32 v178, 0                                      // 0000000062E8: 7F640280
	v_accvgpr_write_b32 a187, 0                                // 0000000062EC: D3D940BB 18000080
	v_mov_b32_e32 v179, 0                                      // 0000000062F4: 7F660280
	v_accvgpr_write_b32 a188, 0                                // 0000000062F8: D3D940BC 18000080
	v_mov_b32_e32 v180, 0                                      // 000000006300: 7F680280
	v_accvgpr_write_b32 a189, 0                                // 000000006304: D3D940BD 18000080
	v_mov_b32_e32 v181, 0                                      // 00000000630C: 7F6A0280
	v_accvgpr_write_b32 a190, 0                                // 000000006310: D3D940BE 18000080
	v_mov_b32_e32 v182, 0                                      // 000000006318: 7F6C0280
	v_accvgpr_write_b32 a191, 0                                // 00000000631C: D3D940BF 18000080
	v_mov_b32_e32 v183, 0                                      // 000000006324: 7F6E0280
	v_accvgpr_write_b32 a192, 0                                // 000000006328: D3D940C0 18000080
	v_mov_b32_e32 v184, 0                                      // 000000006330: 7F700280
	v_accvgpr_write_b32 a193, 0                                // 000000006334: D3D940C1 18000080
	v_mov_b32_e32 v185, 0                                      // 00000000633C: 7F720280
	v_accvgpr_write_b32 a194, 0                                // 000000006340: D3D940C2 18000080
	v_mov_b32_e32 v186, 0                                      // 000000006348: 7F740280
	v_accvgpr_write_b32 a195, 0                                // 00000000634C: D3D940C3 18000080
	v_mov_b32_e32 v187, 0                                      // 000000006354: 7F760280
	v_accvgpr_write_b32 a196, 0                                // 000000006358: D3D940C4 18000080
	v_mov_b32_e32 v188, 0                                      // 000000006360: 7F780280
	v_accvgpr_write_b32 a197, 0                                // 000000006364: D3D940C5 18000080
	v_mov_b32_e32 v189, 0                                      // 00000000636C: 7F7A0280
	v_accvgpr_write_b32 a198, 0                                // 000000006370: D3D940C6 18000080
	v_mov_b32_e32 v190, 0                                      // 000000006378: 7F7C0280
	v_accvgpr_write_b32 a199, 0                                // 00000000637C: D3D940C7 18000080
	v_mov_b32_e32 v191, 0                                      // 000000006384: 7F7E0280
	v_accvgpr_write_b32 a200, 0                                // 000000006388: D3D940C8 18000080
	v_mov_b32_e32 v192, 0                                      // 000000006390: 7F800280
	v_accvgpr_write_b32 a201, 0                                // 000000006394: D3D940C9 18000080
	v_mov_b32_e32 v193, 0                                      // 00000000639C: 7F820280
	v_accvgpr_write_b32 a202, 0                                // 0000000063A0: D3D940CA 18000080
	v_mov_b32_e32 v194, 0                                      // 0000000063A8: 7F840280
	v_accvgpr_write_b32 a203, 0                                // 0000000063AC: D3D940CB 18000080
	v_mov_b32_e32 v195, 0                                      // 0000000063B4: 7F860280
	v_accvgpr_write_b32 a204, 0                                // 0000000063B8: D3D940CC 18000080
	v_mov_b32_e32 v196, 0                                      // 0000000063C0: 7F880280
	v_accvgpr_write_b32 a205, 0                                // 0000000063C4: D3D940CD 18000080
	v_mov_b32_e32 v197, 0                                      // 0000000063CC: 7F8A0280
	v_accvgpr_write_b32 a206, 0                                // 0000000063D0: D3D940CE 18000080
	v_mov_b32_e32 v198, 0                                      // 0000000063D8: 7F8C0280
	v_accvgpr_write_b32 a207, 0                                // 0000000063DC: D3D940CF 18000080
	v_mov_b32_e32 v199, 0                                      // 0000000063E4: 7F8E0280
	v_accvgpr_write_b32 a208, 0                                // 0000000063E8: D3D940D0 18000080
	v_mov_b32_e32 v200, 0                                      // 0000000063F0: 7F900280
	v_accvgpr_write_b32 a209, 0                                // 0000000063F4: D3D940D1 18000080
	v_mov_b32_e32 v201, 0                                      // 0000000063FC: 7F920280
	v_accvgpr_write_b32 a210, 0                                // 000000006400: D3D940D2 18000080
	v_mov_b32_e32 v202, 0                                      // 000000006408: 7F940280
	v_accvgpr_write_b32 a211, 0                                // 00000000640C: D3D940D3 18000080
	v_mov_b32_e32 v203, 0                                      // 000000006414: 7F960280
	v_accvgpr_write_b32 a212, 0                                // 000000006418: D3D940D4 18000080
	v_mov_b32_e32 v204, 0                                      // 000000006420: 7F980280
	v_accvgpr_write_b32 a213, 0                                // 000000006424: D3D940D5 18000080
	v_mov_b32_e32 v205, 0                                      // 00000000642C: 7F9A0280
	v_accvgpr_write_b32 a214, 0                                // 000000006430: D3D940D6 18000080
	v_mov_b32_e32 v206, 0                                      // 000000006438: 7F9C0280
	v_accvgpr_write_b32 a215, 0                                // 00000000643C: D3D940D7 18000080
	v_mov_b32_e32 v207, 0                                      // 000000006444: 7F9E0280
	v_accvgpr_write_b32 a216, 0                                // 000000006448: D3D940D8 18000080
	v_mov_b32_e32 v208, 0                                      // 000000006450: 7FA00280
	v_accvgpr_write_b32 a217, 0                                // 000000006454: D3D940D9 18000080
	v_mov_b32_e32 v209, 0                                      // 00000000645C: 7FA20280
	v_accvgpr_write_b32 a218, 0                                // 000000006460: D3D940DA 18000080
	v_mov_b32_e32 v210, 0                                      // 000000006468: 7FA40280
	v_accvgpr_write_b32 a219, 0                                // 00000000646C: D3D940DB 18000080
	v_mov_b32_e32 v211, 0                                      // 000000006474: 7FA60280
	v_accvgpr_write_b32 a220, 0                                // 000000006478: D3D940DC 18000080
	v_mov_b32_e32 v212, 0                                      // 000000006480: 7FA80280
	v_accvgpr_write_b32 a221, 0                                // 000000006484: D3D940DD 18000080
	v_mov_b32_e32 v213, 0                                      // 00000000648C: 7FAA0280
	v_accvgpr_write_b32 a222, 0                                // 000000006490: D3D940DE 18000080
	v_mov_b32_e32 v214, 0                                      // 000000006498: 7FAC0280
	v_accvgpr_write_b32 a223, 0                                // 00000000649C: D3D940DF 18000080
	v_mov_b32_e32 v215, 0                                      // 0000000064A4: 7FAE0280
	v_accvgpr_write_b32 a224, 0                                // 0000000064A8: D3D940E0 18000080
	v_mov_b32_e32 v216, 0                                      // 0000000064B0: 7FB00280
	v_accvgpr_write_b32 a225, 0                                // 0000000064B4: D3D940E1 18000080
	v_mov_b32_e32 v217, 0                                      // 0000000064BC: 7FB20280
	v_accvgpr_write_b32 a226, 0                                // 0000000064C0: D3D940E2 18000080
	v_mov_b32_e32 v218, 0                                      // 0000000064C8: 7FB40280
	v_accvgpr_write_b32 a227, 0                                // 0000000064CC: D3D940E3 18000080
	v_mov_b32_e32 v219, 0                                      // 0000000064D4: 7FB60280
	v_accvgpr_write_b32 a228, 0                                // 0000000064D8: D3D940E4 18000080
	v_mov_b32_e32 v220, 0                                      // 0000000064E0: 7FB80280
	v_accvgpr_write_b32 a229, 0                                // 0000000064E4: D3D940E5 18000080
	v_mov_b32_e32 v221, 0                                      // 0000000064EC: 7FBA0280
	v_accvgpr_write_b32 a230, 0                                // 0000000064F0: D3D940E6 18000080
	v_mov_b32_e32 v222, 0                                      // 0000000064F8: 7FBC0280
	v_accvgpr_write_b32 a231, 0                                // 0000000064FC: D3D940E7 18000080
	v_mov_b32_e32 v223, 0                                      // 000000006504: 7FBE0280
	v_accvgpr_write_b32 a232, 0                                // 000000006508: D3D940E8 18000080
	v_mov_b32_e32 v224, 0                                      // 000000006510: 7FC00280
	v_accvgpr_write_b32 a233, 0                                // 000000006514: D3D940E9 18000080
	v_mov_b32_e32 v225, 0                                      // 00000000651C: 7FC20280
	v_accvgpr_write_b32 a234, 0                                // 000000006520: D3D940EA 18000080
	v_mov_b32_e32 v226, 0                                      // 000000006528: 7FC40280
	v_accvgpr_write_b32 a235, 0                                // 00000000652C: D3D940EB 18000080
	v_mov_b32_e32 v227, 0                                      // 000000006534: 7FC60280
	v_accvgpr_write_b32 a236, 0                                // 000000006538: D3D940EC 18000080
	v_mov_b32_e32 v228, 0                                      // 000000006540: 7FC80280
	v_accvgpr_write_b32 a237, 0                                // 000000006544: D3D940ED 18000080
	v_mov_b32_e32 v229, 0                                      // 00000000654C: 7FCA0280
	v_accvgpr_write_b32 a238, 0                                // 000000006550: D3D940EE 18000080
	v_mov_b32_e32 v230, 0                                      // 000000006558: 7FCC0280
	v_accvgpr_write_b32 a239, 0                                // 00000000655C: D3D940EF 18000080
	v_mov_b32_e32 v231, 0                                      // 000000006564: 7FCE0280
	v_accvgpr_write_b32 a240, 0                                // 000000006568: D3D940F0 18000080
	v_mov_b32_e32 v232, 0                                      // 000000006570: 7FD00280
	v_accvgpr_write_b32 a241, 0                                // 000000006574: D3D940F1 18000080
	v_mov_b32_e32 v233, 0                                      // 00000000657C: 7FD20280
	v_accvgpr_write_b32 a242, 0                                // 000000006580: D3D940F2 18000080
	v_mov_b32_e32 v234, 0                                      // 000000006588: 7FD40280
	v_accvgpr_write_b32 a243, 0                                // 00000000658C: D3D940F3 18000080
	v_mov_b32_e32 v235, 0                                      // 000000006594: 7FD60280
	v_accvgpr_write_b32 a244, 0                                // 000000006598: D3D940F4 18000080
	v_mov_b32_e32 v236, 0                                      // 0000000065A0: 7FD80280
	v_accvgpr_write_b32 a245, 0                                // 0000000065A4: D3D940F5 18000080
	v_mov_b32_e32 v237, 0                                      // 0000000065AC: 7FDA0280
	v_accvgpr_write_b32 a246, 0                                // 0000000065B0: D3D940F6 18000080
	v_mov_b32_e32 v238, 0                                      // 0000000065B8: 7FDC0280
	v_accvgpr_write_b32 a247, 0                                // 0000000065BC: D3D940F7 18000080
	v_mov_b32_e32 v239, 0                                      // 0000000065C4: 7FDE0280
	v_accvgpr_write_b32 a248, 0                                // 0000000065C8: D3D940F8 18000080
	v_mov_b32_e32 v240, 0                                      // 0000000065D0: 7FE00280
	v_accvgpr_write_b32 a249, 0                                // 0000000065D4: D3D940F9 18000080
	v_mov_b32_e32 v241, 0                                      // 0000000065DC: 7FE20280
	v_accvgpr_write_b32 a250, 0                                // 0000000065E0: D3D940FA 18000080
	v_mov_b32_e32 v242, 0                                      // 0000000065E8: 7FE40280
	v_accvgpr_write_b32 a251, 0                                // 0000000065EC: D3D940FB 18000080
	v_mov_b32_e32 v243, 0                                      // 0000000065F4: 7FE60280
	v_accvgpr_write_b32 a252, 0                                // 0000000065F8: D3D940FC 18000080
	v_mov_b32_e32 v244, 0                                      // 000000006600: 7FE80280
	v_accvgpr_write_b32 a253, 0                                // 000000006604: D3D940FD 18000080
	v_mov_b32_e32 v245, 0                                      // 00000000660C: 7FEA0280
	v_accvgpr_write_b32 a254, 0                                // 000000006610: D3D940FE 18000080
	v_mov_b32_e32 v246, 0                                      // 000000006618: 7FEC0280
	v_accvgpr_write_b32 a255, 0                                // 00000000661C: D3D940FF 18000080
	v_mov_b32_e32 v247, 0                                      // 000000006624: 7FEE0280
	v_mov_b32_e32 v136, 0                                      // 000000006628: 7F100280
	v_mov_b32_e32 v137, 0                                      // 00000000662C: 7F120280
	v_mov_b32_e32 v138, 0                                      // 000000006630: 7F140280
	v_mov_b32_e32 v139, 0                                      // 000000006634: 7F160280
	v_mov_b32_e32 v140, 0                                      // 000000006638: 7F180280
	v_mov_b32_e32 v141, 0                                      // 00000000663C: 7F1A0280
	v_mov_b32_e32 v142, 0                                      // 000000006640: 7F1C0280
	v_mov_b32_e32 v143, 0                                      // 000000006644: 7F1E0280
	v_mov_b32_e32 v128, 0                                      // 000000006648: 7F000280
	v_mov_b32_e32 v129, 0                                      // 00000000664C: 7F020280
	v_mov_b32_e32 v130, 0                                      // 000000006650: 7F040280
	v_mov_b32_e32 v131, 0                                      // 000000006654: 7F060280
	v_mov_b32_e32 v132, 0                                      // 000000006658: 7F080280
	v_mov_b32_e32 v133, 0                                      // 00000000665C: 7F0A0280
	v_mov_b32_e32 v134, 0                                      // 000000006660: 7F0C0280
	v_mov_b32_e32 v135, 0                                      // 000000006664: 7F0E0280
	s_waitcnt lgkmcnt(0)                                       // 000000006668: BF8CC07F
	s_barrier                                                  // 00000000666C: BF8A0000
	v_mov_b32_e32 v32, 0                                       // 000000006670: 7E400280
	s_mov_b64 exec, s[82:83]                                   // 000000006674: BEFE0152
	buffer_load_dword v32, v1, s[8:11], 0 idxen                // 000000006678: E0502000 80022001
	s_mov_b32 exec_lo, -1                                      // 000000006680: BEFE00C1
	s_mov_b32 exec_hi, -1                                      // 000000006684: BEFF00C1
	v_mov_b32_e32 v33, 0                                       // 000000006688: 7E420280
	s_mov_b64 exec, s[82:83]                                   // 00000000668C: BEFE0152
	buffer_load_dword v33, v2, s[8:11], 0 idxen                // 000000006690: E0502000 80022102
	s_mov_b32 exec_lo, -1                                      // 000000006698: BEFE00C1
	s_mov_b32 exec_hi, -1                                      // 00000000669C: BEFF00C1
	v_mov_b32_e32 v34, 0                                       // 0000000066A0: 7E440280
	s_mov_b64 exec, s[82:83]                                   // 0000000066A4: BEFE0152
	buffer_load_dword v34, v3, s[8:11], 0 idxen                // 0000000066A8: E0502000 80022203
	s_mov_b32 exec_lo, -1                                      // 0000000066B0: BEFE00C1
	s_mov_b32 exec_hi, -1                                      // 0000000066B4: BEFF00C1
	v_mov_b32_e32 v35, 0                                       // 0000000066B8: 7E460280
	s_mov_b64 exec, s[82:83]                                   // 0000000066BC: BEFE0152
	buffer_load_dword v35, v4, s[8:11], 0 idxen                // 0000000066C0: E0502000 80022304
	s_mov_b32 exec_lo, -1                                      // 0000000066C8: BEFE00C1
	s_mov_b32 exec_hi, -1                                      // 0000000066CC: BEFF00C1
	v_mov_b32_e32 v40, 0                                       // 0000000066D0: 7E500280
	s_mov_b64 exec, s[82:83]                                   // 0000000066D4: BEFE0152
	buffer_load_dword v40, v252, s[20:23], 0 idxen             // 0000000066D8: E0502000 800528FC
	s_mov_b32 exec_lo, -1                                      // 0000000066E0: BEFE00C1
	s_mov_b32 exec_hi, -1                                      // 0000000066E4: BEFF00C1
	v_mov_b32_e32 v41, 0                                       // 0000000066E8: 7E520280
	s_mov_b64 exec, s[82:83]                                   // 0000000066EC: BEFE0152
	buffer_load_dword v41, v253, s[20:23], 0 idxen             // 0000000066F0: E0502000 800529FD
	s_mov_b32 exec_lo, -1                                      // 0000000066F8: BEFE00C1
	s_mov_b32 exec_hi, -1                                      // 0000000066FC: BEFF00C1
	v_mov_b32_e32 v42, 0                                       // 000000006700: 7E540280
	s_mov_b64 exec, s[82:83]                                   // 000000006704: BEFE0152
	buffer_load_dword v42, v254, s[20:23], 0 idxen             // 000000006708: E0502000 80052AFE
	s_mov_b32 exec_lo, -1                                      // 000000006710: BEFE00C1
	s_mov_b32 exec_hi, -1                                      // 000000006714: BEFF00C1
	v_mov_b32_e32 v43, 0                                       // 000000006718: 7E560280
	s_mov_b64 exec, s[82:83]                                   // 00000000671C: BEFE0152
	buffer_load_dword v43, v255, s[20:23], 0 idxen             // 000000006720: E0502000 80052BFF
	s_mov_b32 exec_lo, -1                                      // 000000006728: BEFE00C1
	s_mov_b32 exec_hi, -1                                      // 00000000672C: BEFF00C1
	buffer_load_dword v9, s[24:27], 0 idxen lds                // 000000006730: E0512000 80060009
	s_mov_b32 m0, s81                                          // 000000006738: BEFC0051
	v_add_u32_e32 v9, s69, v9                                  // 00000000673C: 68121245
	v_add_u32_e32 v1, s68, v1                                  // 000000006740: 68020244
	v_add_u32_e32 v2, s68, v2                                  // 000000006744: 68040444
	;; [unrolled: 1-line block ×3, first 2 shown]
	v_add_u32_e32 v4, s68, v4                                  // 00000000674C: 68080844
	v_add_u32_e32 v252, s100, v252                             // 000000006750: 69F9F864
	v_add_u32_e32 v253, s100, v253                             // 000000006754: 69FBFA64
	v_add_u32_e32 v254, s100, v254                             // 000000006758: 69FDFC64
	v_add_u32_e32 v255, s100, v255                             // 00000000675C: 69FFFE64
	v_mul_f32_e32 v124, s48, v124                              // 000000006760: 0AF8F830
	v_perm_b32 v84, v37, v36, s63                              // 000000006764: D1ED0054 00FE4925
	v_perm_b32 v85, v37, v36, s64                              // 00000000676C: D1ED0055 01024925
	v_perm_b32 v86, v39, v38, s63                              // 000000006774: D1ED0056 00FE4D27
	v_perm_b32 v87, v39, v38, s64                              // 00000000677C: D1ED0057 01024D27
	v_perm_b32 v88, v45, v44, s63                              // 000000006784: D1ED0058 00FE592D
	v_perm_b32 v89, v45, v44, s64                              // 00000000678C: D1ED0059 0102592D
	v_perm_b32 v90, v47, v46, s63                              // 000000006794: D1ED005A 00FE5D2F
	v_perm_b32 v91, v47, v46, s64                              // 00000000679C: D1ED005B 01025D2F
	v_mov_b32_dpp v127, v124 quad_perm:[3,3,3,3] row_mask:0xf bank_mask:0xf// 0000000067A4: 7EFE02FA FF00FF7C
	v_mov_b32_dpp v126, v124 quad_perm:[2,2,2,2] row_mask:0xf bank_mask:0xf// 0000000067AC: 7EFC02FA FF00AA7C
	v_mov_b32_dpp v125, v124 quad_perm:[1,1,1,1] row_mask:0xf bank_mask:0xf// 0000000067B4: 7EFA02FA FF00557C
	v_mov_b32_dpp v124, v124 quad_perm:[0,0,0,0] row_mask:0xf bank_mask:0xf// 0000000067BC: 7EF802FA FF00007C
	s_waitcnt vmcnt(9)                                         // 0000000067C4: BF8C0F79
	s_barrier                                                  // 0000000067C8: BF8A0000
	s_cmp_lt_i32 s46, 2                                        // 0000000067CC: BF04822E
	s_cbranch_scc0 label_1267                                  // 0000000067D0: BF8407E8
	s_nop 0                                                    // 0000000067D4: BF800000
	s_nop 0                                                    // 0000000067D8: BF800000

00000000000067dc <label_0A77>:
	s_waitcnt lgkmcnt(0)                                       // 0000000067DC: BF8CC07F
	s_barrier                                                  // 0000000067E0: BF8A0000
	v_mfma_f32_16x16x16_bf16 v[48:51], a[144:145], a[0:1], 0   // 0000000067E4: D3E10030 1A020190
	ds_write_b32 v11, v44 offset:8704                          // 0000000067EC: D81A2200 00002C0B
	ds_write_b32 v11, v45 offset:9760                          // 0000000067F4: D81A2620 00002D0B
	v_mfma_f32_16x16x16_bf16 v[48:51], a[146:147], a[2:3], v[48:51]// 0000000067FC: D3E10030 1CC20592
	v_mul_f32_e32 v128, s47, v128                              // 000000006804: 0B01002F
	v_mul_f32_e32 v129, s47, v129                              // 000000006808: 0B03022F
	v_mfma_f32_16x16x16_bf16 v[48:51], a[148:149], a[4:5], v[48:51]// 00000000680C: D3E10030 1CC20994
	ds_write_b32 v11, v46 offset:8832                          // 000000006814: D81A2280 00002E0B
	ds_write_b32 v11, v47 offset:9888                          // 00000000681C: D81A26A0 00002F0B
	v_mfma_f32_16x16x16_bf16 v[48:51], a[150:151], a[6:7], v[48:51]// 000000006824: D3E10030 1CC20D96
	v_mul_f32_e32 v130, s47, v130                              // 00000000682C: 0B05042F
	v_mul_f32_e32 v131, s47, v131                              // 000000006830: 0B07062F
	v_mfma_f32_16x16x16_bf16 v[48:51], a[152:153], a[8:9], v[48:51]// 000000006834: D3E10030 1CC21198
	ds_write_b64 v20, v[128:129] offset:24320                  // 00000000683C: D89A5F00 00008014
	v_mfma_f32_16x16x16_bf16 v[48:51], a[154:155], a[10:11], v[48:51]// 000000006844: D3E10030 1CC2159A
	v_mul_f32_e32 v132, s47, v132                              // 00000000684C: 0B09082F
	v_mul_f32_e32 v133, s47, v133                              // 000000006850: 0B0B0A2F
	v_mfma_f32_16x16x16_bf16 v[48:51], a[156:157], a[12:13], v[48:51]// 000000006854: D3E10030 1CC2199C
	ds_write_b64 v20, v[130:131] offset:24832                  // 00000000685C: D89A6100 00008214
	v_mfma_f32_16x16x16_bf16 v[48:51], a[158:159], a[14:15], v[48:51]// 000000006864: D3E10030 1CC21D9E
	v_mul_f32_e32 v134, s47, v134                              // 00000000686C: 0B0D0C2F
	v_mul_f32_e32 v135, s47, v135                              // 000000006870: 0B0F0E2F
	v_mfma_f32_16x16x16_bf16 v[52:55], a[144:145], a[16:17], 0 // 000000006874: D3E10034 1A022190
	ds_write_b64 v20, v[132:133] offset:25344                  // 00000000687C: D89A6300 00008414
	v_mfma_f32_16x16x16_bf16 v[52:55], a[146:147], a[18:19], v[52:55]// 000000006884: D3E10034 1CD22592
	buffer_atomic_add_f32 v140, v7, s[32:35], 0 offen offset:256// 00000000688C: E1341100 80088C07
	v_mfma_f32_16x16x16_bf16 v[52:55], a[148:149], a[20:21], v[52:55]// 000000006894: D3E10034 1CD22994
	ds_write_b64 v20, v[134:135] offset:25856                  // 00000000689C: D89A6500 00008614
	v_mfma_f32_16x16x16_bf16 v[52:55], a[150:151], a[22:23], v[52:55]// 0000000068A4: D3E10034 1CD22D96
	v_mfma_f32_16x16x16_bf16 v[52:55], a[152:153], a[24:25], v[52:55]// 0000000068AC: D3E10034 1CD23198
	ds_read_b128 v[108:111], v12 offset:13056                  // 0000000068B4: D9FE3300 6C00000C
	ds_write_b32 v11, v36                                      // 0000000068BC: D81A0000 0000240B
	v_mfma_f32_16x16x16_bf16 v[52:55], a[154:155], a[26:27], v[52:55]// 0000000068C4: D3E10034 1CD2359A
	buffer_atomic_add_f32 v141, v8, s[32:35], 0 offen offset:256// 0000000068CC: E1341100 80088D08
	v_mfma_f32_16x16x16_bf16 v[52:55], a[156:157], a[28:29], v[52:55]// 0000000068D4: D3E10034 1CD2399C
	v_mfma_f32_16x16x16_bf16 v[52:55], a[158:159], a[30:31], v[52:55]// 0000000068DC: D3E10034 1CD23D9E
	ds_read_b128 v[112:115], v12 offset:13568                  // 0000000068E4: D9FE3500 7000000C
	ds_write_b32 v11, v37 offset:1056                          // 0000000068EC: D81A0420 0000250B
	v_mfma_f32_16x16x16_bf16 v[56:59], a[144:145], a[32:33], 0 // 0000000068F4: D3E10038 1A024190
	buffer_atomic_add_f32 v142, v7, s[32:35], 0 offen offset:384// 0000000068FC: E1341180 80088E07
	v_mfma_f32_16x16x16_bf16 v[56:59], a[146:147], a[34:35], v[56:59]// 000000006904: D3E10038 1CE24592
	v_mfma_f32_16x16x16_bf16 v[56:59], a[148:149], a[36:37], v[56:59]// 00000000690C: D3E10038 1CE24994
	ds_read_b128 v[116:119], v12 offset:15232                  // 000000006914: D9FE3B80 7400000C
	ds_write_b32 v11, v38 offset:128                           // 00000000691C: D81A0080 0000260B
	v_mfma_f32_16x16x16_bf16 v[56:59], a[150:151], a[38:39], v[56:59]// 000000006924: D3E10038 1CE24D96
	v_mfma_f32_16x16x16_bf16 v[56:59], a[152:153], a[40:41], v[56:59]// 00000000692C: D3E10038 1CE25198
	buffer_atomic_add_f32 v143, v8, s[32:35], 0 offen offset:384// 000000006934: E1341180 80088F08
	v_mfma_f32_16x16x16_bf16 v[56:59], a[154:155], a[42:43], v[56:59]// 00000000693C: D3E10038 1CE2559A
	ds_read_b128 v[120:123], v12 offset:15744                  // 000000006944: D9FE3D80 7800000C
	ds_write_b32 v11, v39 offset:1184                          // 00000000694C: D81A04A0 0000270B
	v_mfma_f32_16x16x16_bf16 v[56:59], a[156:157], a[44:45], v[56:59]// 000000006954: D3E10038 1CE2599C
	v_mfma_f32_16x16x16_bf16 v[56:59], a[158:159], a[46:47], v[56:59]// 00000000695C: D3E10038 1CE25D9E
	s_cmp_lt_i32 s74, 12                                       // 000000006964: BF048C4A
	s_cbranch_scc0 label_0B50                                  // 000000006968: BF840075
	s_mov_b32 s60, 0xffe0fffe                                  // 00000000696C: BEBC00FF FFE0FFFE
	s_mov_b32 s61, 0xe000fe00                                  // 000000006974: BEBD00FF E000FE00
	s_nop 0                                                    // 00000000697C: BF800000
	s_add_u32 s62, 0, s46                                      // 000000006980: 803E2E80
	s_cmp_lt_i32 s74, s62                                      // 000000006984: BF043E4A
	s_cbranch_scc1 label_0B0B                                  // 000000006988: BF850028
	s_cmp_eq_i32 s74, s62                                      // 00000000698C: BF003E4A
	s_cbranch_scc1 label_0AF0                                  // 000000006990: BF85000B
	s_add_u32 s62, 4, s46                                      // 000000006994: 803E2E84
	s_cmp_lt_i32 s74, s62                                      // 000000006998: BF043E4A
	s_cbranch_scc1 label_0B2B                                  // 00000000699C: BF850043
	s_cmp_eq_i32 s74, s62                                      // 0000000069A0: BF003E4A
	s_cbranch_scc1 label_0B10                                  // 0000000069A4: BF850026
	s_add_u32 s62, 8, s46                                      // 0000000069A8: 803E2E88
	s_cmp_lt_i32 s74, s62                                      // 0000000069AC: BF043E4A
	s_cbranch_scc1 label_0B4B                                  // 0000000069B0: BF85005E
	s_cmp_eq_i32 s74, s62                                      // 0000000069B4: BF003E4A
	s_cbranch_scc1 label_0B30                                  // 0000000069B8: BF850041
	s_branch label_0B50                                        // 0000000069BC: BF820060

00000000000069c0 <label_0AF0>:
	v_cndmask_b32_e64 v48, v48, v151, s[60:61]                 // 0000000069C0: D1000030 00F32F30
	s_lshl_b32 s60, s60, 1                                     // 0000000069C8: 8E3C813C
	s_lshl_b32 s61, s61, 1                                     // 0000000069CC: 8E3D813D
	s_and_b32 s60, 0xfffeffff, s60                             // 0000000069D0: 863C3CFF FFFEFFFF
	s_and_b32 s61, 0xfffeffff, s61                             // 0000000069D8: 863D3DFF FFFEFFFF
	v_cndmask_b32_e64 v49, v49, v151, s[60:61]                 // 0000000069E0: D1000031 00F32F31
	s_lshl_b32 s60, s60, 1                                     // 0000000069E8: 8E3C813C
	s_lshl_b32 s61, s61, 1                                     // 0000000069EC: 8E3D813D
	s_and_b32 s60, 0xfffeffff, s60                             // 0000000069F0: 863C3CFF FFFEFFFF
	s_and_b32 s61, 0xfffeffff, s61                             // 0000000069F8: 863D3DFF FFFEFFFF
	v_cndmask_b32_e64 v50, v50, v151, s[60:61]                 // 000000006A00: D1000032 00F32F32
	s_lshl_b32 s60, s60, 1                                     // 000000006A08: 8E3C813C
	s_lshl_b32 s61, s61, 1                                     // 000000006A0C: 8E3D813D
	s_and_b32 s60, 0xfffeffff, s60                             // 000000006A10: 863C3CFF FFFEFFFF
	s_and_b32 s61, 0xfffeffff, s61                             // 000000006A18: 863D3DFF FFFEFFFF
	v_cndmask_b32_e64 v51, v51, v151, s[60:61]                 // 000000006A20: D1000033 00F32F33
	s_branch label_0B2B                                        // 000000006A28: BF820020

0000000000006a2c <label_0B0B>:
	v_mov_b32_e32 v48, v151                                    // 000000006A2C: 7E600397
	v_mov_b32_e32 v49, v151                                    // 000000006A30: 7E620397
	v_mov_b32_e32 v50, v151                                    // 000000006A34: 7E640397
	v_mov_b32_e32 v51, v151                                    // 000000006A38: 7E660397
	s_branch label_0B2B                                        // 000000006A3C: BF82001B

0000000000006a40 <label_0B10>:
	v_cndmask_b32_e64 v52, v52, v151, s[60:61]                 // 000000006A40: D1000034 00F32F34
	s_lshl_b32 s60, s60, 1                                     // 000000006A48: 8E3C813C
	s_lshl_b32 s61, s61, 1                                     // 000000006A4C: 8E3D813D
	s_and_b32 s60, 0xfffeffff, s60                             // 000000006A50: 863C3CFF FFFEFFFF
	s_and_b32 s61, 0xfffeffff, s61                             // 000000006A58: 863D3DFF FFFEFFFF
	v_cndmask_b32_e64 v53, v53, v151, s[60:61]                 // 000000006A60: D1000035 00F32F35
	s_lshl_b32 s60, s60, 1                                     // 000000006A68: 8E3C813C
	s_lshl_b32 s61, s61, 1                                     // 000000006A6C: 8E3D813D
	s_and_b32 s60, 0xfffeffff, s60                             // 000000006A70: 863C3CFF FFFEFFFF
	s_and_b32 s61, 0xfffeffff, s61                             // 000000006A78: 863D3DFF FFFEFFFF
	v_cndmask_b32_e64 v54, v54, v151, s[60:61]                 // 000000006A80: D1000036 00F32F36
	s_lshl_b32 s60, s60, 1                                     // 000000006A88: 8E3C813C
	s_lshl_b32 s61, s61, 1                                     // 000000006A8C: 8E3D813D
	s_and_b32 s60, 0xfffeffff, s60                             // 000000006A90: 863C3CFF FFFEFFFF
	s_and_b32 s61, 0xfffeffff, s61                             // 000000006A98: 863D3DFF FFFEFFFF
	v_cndmask_b32_e64 v55, v55, v151, s[60:61]                 // 000000006AA0: D1000037 00F32F37
	s_branch label_0B4B                                        // 000000006AA8: BF820020

0000000000006aac <label_0B2B>:
	v_mov_b32_e32 v52, v151                                    // 000000006AAC: 7E680397
	v_mov_b32_e32 v53, v151                                    // 000000006AB0: 7E6A0397
	v_mov_b32_e32 v54, v151                                    // 000000006AB4: 7E6C0397
	v_mov_b32_e32 v55, v151                                    // 000000006AB8: 7E6E0397
	s_branch label_0B4B                                        // 000000006ABC: BF82001B

0000000000006ac0 <label_0B30>:
	v_cndmask_b32_e64 v56, v56, v151, s[60:61]                 // 000000006AC0: D1000038 00F32F38
	s_lshl_b32 s60, s60, 1                                     // 000000006AC8: 8E3C813C
	s_lshl_b32 s61, s61, 1                                     // 000000006ACC: 8E3D813D
	s_and_b32 s60, 0xfffeffff, s60                             // 000000006AD0: 863C3CFF FFFEFFFF
	s_and_b32 s61, 0xfffeffff, s61                             // 000000006AD8: 863D3DFF FFFEFFFF
	v_cndmask_b32_e64 v57, v57, v151, s[60:61]                 // 000000006AE0: D1000039 00F32F39
	s_lshl_b32 s60, s60, 1                                     // 000000006AE8: 8E3C813C
	s_lshl_b32 s61, s61, 1                                     // 000000006AEC: 8E3D813D
	s_and_b32 s60, 0xfffeffff, s60                             // 000000006AF0: 863C3CFF FFFEFFFF
	s_and_b32 s61, 0xfffeffff, s61                             // 000000006AF8: 863D3DFF FFFEFFFF
	v_cndmask_b32_e64 v58, v58, v151, s[60:61]                 // 000000006B00: D100003A 00F32F3A
	s_lshl_b32 s60, s60, 1                                     // 000000006B08: 8E3C813C
	s_lshl_b32 s61, s61, 1                                     // 000000006B0C: 8E3D813D
	s_and_b32 s60, 0xfffeffff, s60                             // 000000006B10: 863C3CFF FFFEFFFF
	s_and_b32 s61, 0xfffeffff, s61                             // 000000006B18: 863D3DFF FFFEFFFF
	v_cndmask_b32_e64 v59, v59, v151, s[60:61]                 // 000000006B20: D100003B 00F32F3B
	s_branch label_0B50                                        // 000000006B28: BF820005

0000000000006b2c <label_0B4B>:
	v_mov_b32_e32 v56, v151                                    // 000000006B2C: 7E700397
	v_mov_b32_e32 v57, v151                                    // 000000006B30: 7E720397
	v_mov_b32_e32 v58, v151                                    // 000000006B34: 7E740397
	v_mov_b32_e32 v59, v151                                    // 000000006B38: 7E760397
	s_branch label_0B50                                        // 000000006B3C: BF820000

0000000000006b40 <label_0B50>:
	s_cmp_lt_i32 s84, 0xc0                                     // 000000006B40: BF04FF54 000000C0
	s_cbranch_scc0 label_0BA5                                  // 000000006B48: BF84004D
	s_cmp_le_i32 s84, 64                                       // 000000006B4C: BF05C054
	s_cbranch_scc1 label_0B5C                                  // 000000006B50: BF850007
	s_cmp_le_i32 s84, 0x80                                     // 000000006B54: BF05FF54 00000080
	s_cbranch_scc1 label_0B74                                  // 000000006B5C: BF850017
	s_cmp_lt_i32 s84, 0xc0                                     // 000000006B60: BF04FF54 000000C0
	s_cbranch_scc1 label_0B8C                                  // 000000006B68: BF85002C
	s_branch label_0BA5                                        // 000000006B6C: BF820044

0000000000006b70 <label_0B5C>:
	s_mov_b32 s60, 0                                           // 000000006B70: BEBC0080
	v_and_b32_e32 v28, 15, v0                                  // 000000006B74: 2638008F
	v_add_u32_e64 v28, v28, s60                                // 000000006B78: D134001C 0000791C
	v_mul_i32_i24_e64 v29, s46, 16                             // 000000006B80: D106001D 0001202E
	v_add_u32_e32 v28, v28, v29                                // 000000006B88: 68383B1C
	v_cmp_lt_u32_e64 s[60:61], v28, s84                        // 000000006B8C: D0C9003C 0000A91C
	s_nop 1                                                    // 000000006B94: BF800001
	v_cndmask_b32_e64 v48, v151, v48, s[60:61]                 // 000000006B98: D1000030 00F26197
	v_cndmask_b32_e64 v49, v151, v49, s[60:61]                 // 000000006BA0: D1000031 00F26397
	v_cndmask_b32_e64 v50, v151, v50, s[60:61]                 // 000000006BA8: D1000032 00F26597
	v_cndmask_b32_e64 v51, v151, v51, s[60:61]                 // 000000006BB0: D1000033 00F26797
	s_branch label_0B87                                        // 000000006BB8: BF820013

0000000000006bbc <label_0B74>:
	s_mov_b32 s60, 64                                          // 000000006BBC: BEBC00C0
	v_and_b32_e32 v28, 15, v0                                  // 000000006BC0: 2638008F
	v_add_u32_e64 v28, v28, s60                                // 000000006BC4: D134001C 0000791C
	v_mul_i32_i24_e64 v29, s46, 16                             // 000000006BCC: D106001D 0001202E
	v_add_u32_e32 v28, v28, v29                                // 000000006BD4: 68383B1C
	v_cmp_lt_u32_e64 s[60:61], v28, s84                        // 000000006BD8: D0C9003C 0000A91C
	s_nop 1                                                    // 000000006BE0: BF800001
	v_cndmask_b32_e64 v52, v151, v52, s[60:61]                 // 000000006BE4: D1000034 00F26997
	v_cndmask_b32_e64 v53, v151, v53, s[60:61]                 // 000000006BEC: D1000035 00F26B97
	v_cndmask_b32_e64 v54, v151, v54, s[60:61]                 // 000000006BF4: D1000036 00F26D97
	v_cndmask_b32_e64 v55, v151, v55, s[60:61]                 // 000000006BFC: D1000037 00F26F97
	s_branch label_0BA0                                        // 000000006C04: BF820019

0000000000006c08 <label_0B87>:
	v_mov_b32_e32 v52, v151                                    // 000000006C08: 7E680397
	v_mov_b32_e32 v53, v151                                    // 000000006C0C: 7E6A0397
	v_mov_b32_e32 v54, v151                                    // 000000006C10: 7E6C0397
	v_mov_b32_e32 v55, v151                                    // 000000006C14: 7E6E0397
	s_branch label_0BA0                                        // 000000006C18: BF820014

0000000000006c1c <label_0B8C>:
	s_mov_b32 s60, 0x80                                        // 000000006C1C: BEBC00FF 00000080
	v_and_b32_e32 v28, 15, v0                                  // 000000006C24: 2638008F
	v_add_u32_e64 v28, v28, s60                                // 000000006C28: D134001C 0000791C
	v_mul_i32_i24_e64 v29, s46, 16                             // 000000006C30: D106001D 0001202E
	v_add_u32_e32 v28, v28, v29                                // 000000006C38: 68383B1C
	v_cmp_lt_u32_e64 s[60:61], v28, s84                        // 000000006C3C: D0C9003C 0000A91C
	s_nop 1                                                    // 000000006C44: BF800001
	v_cndmask_b32_e64 v56, v151, v56, s[60:61]                 // 000000006C48: D1000038 00F27197
	v_cndmask_b32_e64 v57, v151, v57, s[60:61]                 // 000000006C50: D1000039 00F27397
	v_cndmask_b32_e64 v58, v151, v58, s[60:61]                 // 000000006C58: D100003A 00F27597
	v_cndmask_b32_e64 v59, v151, v59, s[60:61]                 // 000000006C60: D100003B 00F27797
	s_branch label_0BA5                                        // 000000006C68: BF820005

0000000000006c6c <label_0BA0>:
	v_mov_b32_e32 v56, v151                                    // 000000006C6C: 7E700397
	v_mov_b32_e32 v57, v151                                    // 000000006C70: 7E720397
	v_mov_b32_e32 v58, v151                                    // 000000006C74: 7E740397
	v_mov_b32_e32 v59, v151                                    // 000000006C78: 7E760397
	s_branch label_0BA5                                        // 000000006C7C: BF820000

0000000000006c80 <label_0BA5>:
	s_addk_i32 s74, 0x1                                        // 000000006C80: B74A0001
	s_waitcnt lgkmcnt(8)                                       // 000000006C84: BF8CC87F
	s_barrier                                                  // 000000006C88: BF8A0000
	v_mfma_f32_16x16x16_bf16 v[72:75], v[92:93], a[96:97], 0   // 000000006C8C: D3E10048 1202C15C
	ds_read_b128 a[144:147], v12 offset:4352                   // 000000006C94: DBFE1100 9000000C
	ds_read_b128 a[148:151], v12 offset:4864                   // 000000006C9C: DBFE1300 9400000C
	v_mfma_f32_16x16x16_bf16 v[72:75], v[94:95], a[98:99], v[72:75]// 000000006CA4: D3E10048 1522C55E
	v_fma_f32 v48, v48, s57, -v124                             // 000000006CAC: D1CB0030 85F07330
	v_fma_f32 v49, v49, s57, -v125                             // 000000006CB4: D1CB0031 85F47331
	v_fma_f32 v50, v50, s57, -v126                             // 000000006CBC: D1CB0032 85F87332
	v_mfma_f32_16x16x16_bf16 v[72:75], v[96:97], a[100:101], v[72:75]// 000000006CC4: D3E10048 1522C960
	v_fma_f32 v51, v51, s57, -v127                             // 000000006CCC: D1CB0033 85FC7333
	v_fma_f32 v52, v52, s57, -v124                             // 000000006CD4: D1CB0034 85F07334
	v_fma_f32 v53, v53, s57, -v125                             // 000000006CDC: D1CB0035 85F47335
	v_mfma_f32_16x16x16_bf16 v[72:75], v[98:99], a[102:103], v[72:75]// 000000006CE4: D3E10048 1522CD62
	v_fma_f32 v54, v54, s57, -v126                             // 000000006CEC: D1CB0036 85F87336
	v_fma_f32 v55, v55, s57, -v127                             // 000000006CF4: D1CB0037 85FC7337
	v_fma_f32 v56, v56, s57, -v124                             // 000000006CFC: D1CB0038 85F07338
	v_mfma_f32_16x16x16_bf16 v[72:75], v[100:101], a[104:105], v[72:75]// 000000006D04: D3E10048 1522D164
	ds_read_b128 a[152:155], v12 offset:6528                   // 000000006D0C: DBFE1980 9800000C
	ds_read_b128 a[156:159], v12 offset:7040                   // 000000006D14: DBFE1B80 9C00000C
	v_mfma_f32_16x16x16_bf16 v[72:75], v[102:103], a[106:107], v[72:75]// 000000006D1C: D3E10048 1522D566
	v_fma_f32 v57, v57, s57, -v125                             // 000000006D24: D1CB0039 85F47339
	v_fma_f32 v58, v58, s57, -v126                             // 000000006D2C: D1CB003A 85F8733A
	v_fma_f32 v59, v59, s57, -v127                             // 000000006D34: D1CB003B 85FC733B
	v_mfma_f32_16x16x16_bf16 v[72:75], v[104:105], a[108:109], v[72:75]// 000000006D3C: D3E10048 1522D968
	v_exp_f32_e32 v48, v48                                     // 000000006D44: 7E604130
	v_mfma_f32_16x16x16_bf16 v[72:75], v[106:107], a[110:111], v[72:75]// 000000006D48: D3E10048 1522DD6A
	v_exp_f32_e32 v49, v49                                     // 000000006D50: 7E624131
	v_mfma_f32_16x16x16_bf16 v[76:79], v[92:93], a[112:113], 0 // 000000006D54: D3E1004C 1202E15C
	ds_read_b64 v[136:137], v19 offset:24320                   // 000000006D5C: D8EC5F00 88000013
	ds_read_b64 v[138:139], v19 offset:26368                   // 000000006D64: D8EC6700 8A000013
	v_mfma_f32_16x16x16_bf16 v[76:79], v[94:95], a[114:115], v[76:79]// 000000006D6C: D3E1004C 1532E55E
	v_exp_f32_e32 v50, v50                                     // 000000006D74: 7E644132
	v_mfma_f32_16x16x16_bf16 v[76:79], v[96:97], a[116:117], v[76:79]// 000000006D78: D3E1004C 1532E960
	ds_read_b64 v[140:141], v19 offset:28416                   // 000000006D80: D8EC6F00 8C000013
	ds_read_b64 v[142:143], v19 offset:30464                   // 000000006D88: D8EC7700 8E000013
	v_mfma_f32_16x16x16_bf16 v[76:79], v[98:99], a[118:119], v[76:79]// 000000006D90: D3E1004C 1532ED62
	v_exp_f32_e32 v51, v51                                     // 000000006D98: 7E664133
	v_mfma_f32_16x16x16_bf16 v[76:79], v[100:101], a[120:121], v[76:79]// 000000006D9C: D3E1004C 1532F164
	v_exp_f32_e32 v52, v52                                     // 000000006DA4: 7E684134
	v_mfma_f32_16x16x16_bf16 v[76:79], v[102:103], a[122:123], v[76:79]// 000000006DA8: D3E1004C 1532F566
	v_exp_f32_e32 v53, v53                                     // 000000006DB0: 7E6A4135
	v_mfma_f32_16x16x16_bf16 v[76:79], v[104:105], a[124:125], v[76:79]// 000000006DB4: D3E1004C 1532F968
	v_exp_f32_e32 v54, v54                                     // 000000006DBC: 7E6C4136
	v_mfma_f32_16x16x16_bf16 v[76:79], v[106:107], a[126:127], v[76:79]// 000000006DC0: D3E1004C 1532FD6A
	v_exp_f32_e32 v55, v55                                     // 000000006DC8: 7E6E4137
	v_mfma_f32_16x16x16_bf16 v[80:83], v[92:93], a[128:129], 0 // 000000006DCC: D3E10050 1203015C
	v_exp_f32_e32 v56, v56                                     // 000000006DD4: 7E704138
	v_mfma_f32_16x16x16_bf16 v[80:83], v[94:95], a[130:131], v[80:83]// 000000006DD8: D3E10050 1543055E
	v_exp_f32_e32 v57, v57                                     // 000000006DE0: 7E724139
	v_mfma_f32_16x16x16_bf16 v[80:83], v[96:97], a[132:133], v[80:83]// 000000006DE4: D3E10050 15430960
	v_exp_f32_e32 v58, v58                                     // 000000006DEC: 7E74413A
	v_mfma_f32_16x16x16_bf16 v[80:83], v[98:99], a[134:135], v[80:83]// 000000006DF0: D3E10050 15430D62
	v_exp_f32_e32 v59, v59                                     // 000000006DF8: 7E76413B
	v_mfma_f32_16x16x16_bf16 v[80:83], v[100:101], a[136:137], v[80:83]// 000000006DFC: D3E10050 15431164
	v_cmp_u_f32_e64 s[78:79], v48, v48                         // 000000006E04: D048004E 00026130
	v_bfe_u32 v248, v48, 16, 1                                 // 000000006E0C: D1C800F8 02052130
	v_add3_u32 v248, v48, v248, v251                           // 000000006E14: D1FF00F8 07EFF130
	v_cndmask_b32_e64 v28, v248, v250, s[78:79]                // 000000006E1C: D100001C 013BF5F8
	v_lshrrev_b32_e32 v28, 16, v28                             // 000000006E24: 20383890
	v_cmp_u_f32_e64 s[78:79], v49, v49                         // 000000006E28: D048004E 00026331
	v_bfe_u32 v248, v49, 16, 1                                 // 000000006E30: D1C800F8 02052131
	v_add3_u32 v248, v49, v248, v251                           // 000000006E38: D1FF00F8 07EFF131
	v_cndmask_b32_e64 v29, v248, v250, s[78:79]                // 000000006E40: D100001D 013BF5F8
	v_and_or_b32 v144, v29, v249, v28                          // 000000006E48: D2010090 0473F31D
	v_cmp_u_f32_e64 s[78:79], v50, v50                         // 000000006E50: D048004E 00026532
	v_bfe_u32 v248, v50, 16, 1                                 // 000000006E58: D1C800F8 02052132
	v_add3_u32 v248, v50, v248, v251                           // 000000006E60: D1FF00F8 07EFF132
	v_cndmask_b32_e64 v28, v248, v250, s[78:79]                // 000000006E68: D100001C 013BF5F8
	v_lshrrev_b32_e32 v28, 16, v28                             // 000000006E70: 20383890
	v_cmp_u_f32_e64 s[78:79], v51, v51                         // 000000006E74: D048004E 00026733
	v_bfe_u32 v248, v51, 16, 1                                 // 000000006E7C: D1C800F8 02052133
	v_add3_u32 v248, v51, v248, v251                           // 000000006E84: D1FF00F8 07EFF133
	v_cndmask_b32_e64 v29, v248, v250, s[78:79]                // 000000006E8C: D100001D 013BF5F8
	v_and_or_b32 v145, v29, v249, v28                          // 000000006E94: D2010091 0473F31D
	v_cmp_u_f32_e64 s[78:79], v52, v52                         // 000000006E9C: D048004E 00026934
	v_bfe_u32 v248, v52, 16, 1                                 // 000000006EA4: D1C800F8 02052134
	v_add3_u32 v248, v52, v248, v251                           // 000000006EAC: D1FF00F8 07EFF134
	v_cndmask_b32_e64 v28, v248, v250, s[78:79]                // 000000006EB4: D100001C 013BF5F8
	v_lshrrev_b32_e32 v28, 16, v28                             // 000000006EBC: 20383890
	v_cmp_u_f32_e64 s[78:79], v53, v53                         // 000000006EC0: D048004E 00026B35
	v_bfe_u32 v248, v53, 16, 1                                 // 000000006EC8: D1C800F8 02052135
	v_add3_u32 v248, v53, v248, v251                           // 000000006ED0: D1FF00F8 07EFF135
	v_cndmask_b32_e64 v29, v248, v250, s[78:79]                // 000000006ED8: D100001D 013BF5F8
	v_and_or_b32 v146, v29, v249, v28                          // 000000006EE0: D2010092 0473F31D
	v_mfma_f32_16x16x16_bf16 v[80:83], v[102:103], a[138:139], v[80:83]// 000000006EE8: D3E10050 15431566
	v_cmp_u_f32_e64 s[78:79], v54, v54                         // 000000006EF0: D048004E 00026D36
	v_bfe_u32 v248, v54, 16, 1                                 // 000000006EF8: D1C800F8 02052136
	v_add3_u32 v248, v54, v248, v251                           // 000000006F00: D1FF00F8 07EFF136
	v_cndmask_b32_e64 v28, v248, v250, s[78:79]                // 000000006F08: D100001C 013BF5F8
	v_lshrrev_b32_e32 v28, 16, v28                             // 000000006F10: 20383890
	v_cmp_u_f32_e64 s[78:79], v55, v55                         // 000000006F14: D048004E 00026F37
	v_bfe_u32 v248, v55, 16, 1                                 // 000000006F1C: D1C800F8 02052137
	v_add3_u32 v248, v55, v248, v251                           // 000000006F24: D1FF00F8 07EFF137
	v_cndmask_b32_e64 v29, v248, v250, s[78:79]                // 000000006F2C: D100001D 013BF5F8
	v_and_or_b32 v147, v29, v249, v28                          // 000000006F34: D2010093 0473F31D
	v_cmp_u_f32_e64 s[78:79], v56, v56                         // 000000006F3C: D048004E 00027138
	v_bfe_u32 v248, v56, 16, 1                                 // 000000006F44: D1C800F8 02052138
	v_add3_u32 v248, v56, v248, v251                           // 000000006F4C: D1FF00F8 07EFF138
	v_cndmask_b32_e64 v28, v248, v250, s[78:79]                // 000000006F54: D100001C 013BF5F8
	v_lshrrev_b32_e32 v28, 16, v28                             // 000000006F5C: 20383890
	v_cmp_u_f32_e64 s[78:79], v57, v57                         // 000000006F60: D048004E 00027339
	v_bfe_u32 v248, v57, 16, 1                                 // 000000006F68: D1C800F8 02052139
	v_add3_u32 v248, v57, v248, v251                           // 000000006F70: D1FF00F8 07EFF139
	v_cndmask_b32_e64 v29, v248, v250, s[78:79]                // 000000006F78: D100001D 013BF5F8
	v_and_or_b32 v148, v29, v249, v28                          // 000000006F80: D2010094 0473F31D
	v_cmp_u_f32_e64 s[78:79], v58, v58                         // 000000006F88: D048004E 0002753A
	v_bfe_u32 v248, v58, 16, 1                                 // 000000006F90: D1C800F8 0205213A
	v_add3_u32 v248, v58, v248, v251                           // 000000006F98: D1FF00F8 07EFF13A
	v_cndmask_b32_e64 v28, v248, v250, s[78:79]                // 000000006FA0: D100001C 013BF5F8
	v_lshrrev_b32_e32 v28, 16, v28                             // 000000006FA8: 20383890
	v_cmp_u_f32_e64 s[78:79], v59, v59                         // 000000006FAC: D048004E 0002773B
	v_bfe_u32 v248, v59, 16, 1                                 // 000000006FB4: D1C800F8 0205213B
	v_add3_u32 v248, v59, v248, v251                           // 000000006FBC: D1FF00F8 07EFF13B
	v_cndmask_b32_e64 v29, v248, v250, s[78:79]                // 000000006FC4: D100001D 013BF5F8
	v_and_or_b32 v149, v29, v249, v28                          // 000000006FCC: D2010095 0473F31D
	v_mfma_f32_16x16x16_bf16 v[80:83], v[104:105], a[140:141], v[80:83]// 000000006FD4: D3E10050 15431968
	v_add_u32_e32 v7, s66, v7                                  // 000000006FDC: 680E0E42
	v_add_u32_e32 v8, s66, v8                                  // 000000006FE0: 68101042
	v_mfma_f32_16x16x16_bf16 v[80:83], v[106:107], a[142:143], v[80:83]// 000000006FE4: D3E10050 15431D6A
	s_waitcnt lgkmcnt(0)                                       // 000000006FEC: BF8CC07F
	s_barrier                                                  // 000000006FF0: BF8A0000
	v_mfma_f32_16x16x16_bf16 v[152:155], v[108:109], v[144:145], v[152:155]// 000000006FF4: D3E10098 0663216C
	v_subrev_f32_dpp v72, v150, v72 quad_perm:[0,0,0,0] row_mask:0xf bank_mask:0xf// 000000006FFC: 069090FA FF000096
	v_subrev_f32_dpp v73, v150, v73 quad_perm:[1,1,1,1] row_mask:0xf bank_mask:0xf// 000000007004: 069292FA FF005596
	v_subrev_f32_dpp v74, v150, v74 quad_perm:[2,2,2,2] row_mask:0xf bank_mask:0xf// 00000000700C: 069494FA FF00AA96
	v_mfma_f32_16x16x16_bf16 v[156:159], v[110:111], v[144:145], v[156:159]// 000000007014: D3E1009C 0673216E
	v_subrev_f32_dpp v75, v150, v75 quad_perm:[3,3,3,3] row_mask:0xf bank_mask:0xf// 00000000701C: 069696FA FF00FF96
	v_subrev_f32_dpp v76, v150, v76 quad_perm:[0,0,0,0] row_mask:0xf bank_mask:0xf// 000000007024: 069898FA FF000096
	v_subrev_f32_dpp v77, v150, v77 quad_perm:[1,1,1,1] row_mask:0xf bank_mask:0xf// 00000000702C: 069A9AFA FF005596
	v_mfma_f32_16x16x16_bf16 v[160:163], v[112:113], v[144:145], v[160:163]// 000000007034: D3E100A0 06832170
	v_mul_f32_e32 v72, v48, v72                                // 00000000703C: 0A909130
	v_mul_f32_e32 v73, v49, v73                                // 000000007040: 0A929331
	v_mul_f32_e32 v74, v50, v74                                // 000000007044: 0A949532
	v_mfma_f32_16x16x16_bf16 v[164:167], v[114:115], v[144:145], v[164:167]// 000000007048: D3E100A4 06932172
	v_mul_f32_e32 v75, v51, v75                                // 000000007050: 0A969733
	v_mul_f32_e32 v76, v52, v76                                // 000000007054: 0A989934
	v_mul_f32_e32 v77, v53, v77                                // 000000007058: 0A9A9B35
	v_mfma_f32_16x16x16_bf16 v[168:171], v[116:117], v[144:145], v[168:171]// 00000000705C: D3E100A8 06A32174
	v_cmp_u_f32_e64 s[78:79], v72, v72                         // 000000007064: D048004E 00029148
	v_bfe_u32 v248, v72, 16, 1                                 // 00000000706C: D1C800F8 02052148
	v_add3_u32 v248, v72, v248, v251                           // 000000007074: D1FF00F8 07EFF148
	v_cndmask_b32_e64 v28, v248, v250, s[78:79]                // 00000000707C: D100001C 013BF5F8
	v_lshrrev_b32_e32 v28, 16, v28                             // 000000007084: 20383890
	v_cmp_u_f32_e64 s[78:79], v73, v73                         // 000000007088: D048004E 00029349
	v_bfe_u32 v248, v73, 16, 1                                 // 000000007090: D1C800F8 02052149
	v_add3_u32 v248, v73, v248, v251                           // 000000007098: D1FF00F8 07EFF149
	v_cndmask_b32_e64 v29, v248, v250, s[78:79]                // 0000000070A0: D100001D 013BF5F8
	v_and_or_b32 v72, v29, v249, v28                           // 0000000070A8: D2010048 0473F31D
	v_cmp_u_f32_e64 s[78:79], v74, v74                         // 0000000070B0: D048004E 0002954A
	v_bfe_u32 v248, v74, 16, 1                                 // 0000000070B8: D1C800F8 0205214A
	v_add3_u32 v248, v74, v248, v251                           // 0000000070C0: D1FF00F8 07EFF14A
	v_cndmask_b32_e64 v28, v248, v250, s[78:79]                // 0000000070C8: D100001C 013BF5F8
	v_lshrrev_b32_e32 v28, 16, v28                             // 0000000070D0: 20383890
	v_cmp_u_f32_e64 s[78:79], v75, v75                         // 0000000070D4: D048004E 0002974B
	v_bfe_u32 v248, v75, 16, 1                                 // 0000000070DC: D1C800F8 0205214B
	v_add3_u32 v248, v75, v248, v251                           // 0000000070E4: D1FF00F8 07EFF14B
	v_cndmask_b32_e64 v29, v248, v250, s[78:79]                // 0000000070EC: D100001D 013BF5F8
	v_and_or_b32 v73, v29, v249, v28                           // 0000000070F4: D2010049 0473F31D
	v_cmp_u_f32_e64 s[78:79], v76, v76                         // 0000000070FC: D048004E 0002994C
	v_bfe_u32 v248, v76, 16, 1                                 // 000000007104: D1C800F8 0205214C
	v_add3_u32 v248, v76, v248, v251                           // 00000000710C: D1FF00F8 07EFF14C
	v_cndmask_b32_e64 v28, v248, v250, s[78:79]                // 000000007114: D100001C 013BF5F8
	v_lshrrev_b32_e32 v28, 16, v28                             // 00000000711C: 20383890
	v_cmp_u_f32_e64 s[78:79], v77, v77                         // 000000007120: D048004E 00029B4D
	v_bfe_u32 v248, v77, 16, 1                                 // 000000007128: D1C800F8 0205214D
	v_add3_u32 v248, v77, v248, v251                           // 000000007130: D1FF00F8 07EFF14D
	v_cndmask_b32_e64 v29, v248, v250, s[78:79]                // 000000007138: D100001D 013BF5F8
	v_and_or_b32 v74, v29, v249, v28                           // 000000007140: D201004A 0473F31D
	v_mfma_f32_16x16x16_bf16 v[172:175], v[118:119], v[144:145], v[172:175]// 000000007148: D3E100AC 06B32176
	v_mov_b32_dpp v16, v72 quad_perm:[1,0,3,2] row_mask:0xf bank_mask:0xf// 000000007150: 7E2002FA FF00B148
	v_perm_b32 v48, v16, v72, v15                              // 000000007158: D1ED0030 043E9110
	v_mov_b32_dpp v16, v73 quad_perm:[1,0,3,2] row_mask:0xf bank_mask:0xf// 000000007160: 7E2002FA FF00B149
	v_mfma_f32_16x16x16_bf16 v[176:179], v[120:121], v[144:145], v[176:179]// 000000007168: D3E100B0 06C32178
	v_perm_b32 v49, v16, v73, v15                              // 000000007170: D1ED0031 043E9310
	v_mov_b32_dpp v16, v74 quad_perm:[1,0,3,2] row_mask:0xf bank_mask:0xf// 000000007178: 7E2002FA FF00B14A
	v_perm_b32 v50, v16, v74, v15                              // 000000007180: D1ED0032 043E9510
	v_mfma_f32_16x16x16_bf16 v[180:183], v[122:123], v[144:145], v[180:183]// 000000007188: D3E100B4 06D3217A
	ds_write_b32 v18, v48 offset:17408                         // 000000007190: D81A4400 00003012
	v_mfma_f32_16x16x16_bf16 v[184:187], v[108:109], v[146:147], v[184:187]// 000000007198: D3E100B8 06E3256C
	v_subrev_f32_dpp v78, v150, v78 quad_perm:[2,2,2,2] row_mask:0xf bank_mask:0xf// 0000000071A0: 069C9CFA FF00AA96
	v_subrev_f32_dpp v79, v150, v79 quad_perm:[3,3,3,3] row_mask:0xf bank_mask:0xf// 0000000071A8: 069E9EFA FF00FF96
	v_subrev_f32_dpp v80, v150, v80 quad_perm:[0,0,0,0] row_mask:0xf bank_mask:0xf// 0000000071B0: 06A0A0FA FF000096
	v_mfma_f32_16x16x16_bf16 v[188:191], v[110:111], v[146:147], v[188:191]// 0000000071B8: D3E100BC 06F3256E
	ds_write_b32 v18, v49 offset:17952                         // 0000000071C0: D81A4620 00003112
	v_mfma_f32_16x16x16_bf16 v[192:195], v[112:113], v[146:147], v[192:195]// 0000000071C8: D3E100C0 07032570
	v_subrev_f32_dpp v81, v150, v81 quad_perm:[1,1,1,1] row_mask:0xf bank_mask:0xf// 0000000071D0: 06A2A2FA FF005596
	v_subrev_f32_dpp v82, v150, v82 quad_perm:[2,2,2,2] row_mask:0xf bank_mask:0xf// 0000000071D8: 06A4A4FA FF00AA96
	v_subrev_f32_dpp v83, v150, v83 quad_perm:[3,3,3,3] row_mask:0xf bank_mask:0xf// 0000000071E0: 06A6A6FA FF00FF96
	v_mfma_f32_16x16x16_bf16 v[196:199], v[114:115], v[146:147], v[196:199]// 0000000071E8: D3E100C4 07132572
	ds_write_b32 v18, v50 offset:19712                         // 0000000071F0: D81A4D00 00003212
	v_mfma_f32_16x16x16_bf16 v[200:203], v[116:117], v[146:147], v[200:203]// 0000000071F8: D3E100C8 07232574
	v_mul_f32_e32 v78, v54, v78                                // 000000007200: 0A9C9D36
	v_mul_f32_e32 v79, v55, v79                                // 000000007204: 0A9E9F37
	v_mul_f32_e32 v80, v56, v80                                // 000000007208: 0AA0A138
	v_mfma_f32_16x16x16_bf16 v[204:207], v[118:119], v[146:147], v[204:207]// 00000000720C: D3E100CC 07332576
	v_mul_f32_e32 v81, v57, v81                                // 000000007214: 0AA2A339
	v_mul_f32_e32 v82, v58, v82                                // 000000007218: 0AA4A53A
	v_mul_f32_e32 v83, v59, v83                                // 00000000721C: 0AA6A73B
	v_mfma_f32_16x16x16_bf16 v[208:211], v[120:121], v[146:147], v[208:211]// 000000007220: D3E100D0 07432578
	v_cmp_u_f32_e64 s[78:79], v78, v78                         // 000000007228: D048004E 00029D4E
	v_bfe_u32 v248, v78, 16, 1                                 // 000000007230: D1C800F8 0205214E
	v_add3_u32 v248, v78, v248, v251                           // 000000007238: D1FF00F8 07EFF14E
	v_cndmask_b32_e64 v28, v248, v250, s[78:79]                // 000000007240: D100001C 013BF5F8
	v_lshrrev_b32_e32 v28, 16, v28                             // 000000007248: 20383890
	v_cmp_u_f32_e64 s[78:79], v79, v79                         // 00000000724C: D048004E 00029F4F
	v_bfe_u32 v248, v79, 16, 1                                 // 000000007254: D1C800F8 0205214F
	v_add3_u32 v248, v79, v248, v251                           // 00000000725C: D1FF00F8 07EFF14F
	v_cndmask_b32_e64 v29, v248, v250, s[78:79]                // 000000007264: D100001D 013BF5F8
	v_and_or_b32 v75, v29, v249, v28                           // 00000000726C: D201004B 0473F31D
	v_cmp_u_f32_e64 s[78:79], v80, v80                         // 000000007274: D048004E 0002A150
	v_bfe_u32 v248, v80, 16, 1                                 // 00000000727C: D1C800F8 02052150
	v_add3_u32 v248, v80, v248, v251                           // 000000007284: D1FF00F8 07EFF150
	v_cndmask_b32_e64 v28, v248, v250, s[78:79]                // 00000000728C: D100001C 013BF5F8
	v_lshrrev_b32_e32 v28, 16, v28                             // 000000007294: 20383890
	v_cmp_u_f32_e64 s[78:79], v81, v81                         // 000000007298: D048004E 0002A351
	v_bfe_u32 v248, v81, 16, 1                                 // 0000000072A0: D1C800F8 02052151
	v_add3_u32 v248, v81, v248, v251                           // 0000000072A8: D1FF00F8 07EFF151
	v_cndmask_b32_e64 v29, v248, v250, s[78:79]                // 0000000072B0: D100001D 013BF5F8
	v_and_or_b32 v76, v29, v249, v28                           // 0000000072B8: D201004C 0473F31D
	v_cmp_u_f32_e64 s[78:79], v82, v82                         // 0000000072C0: D048004E 0002A552
	v_bfe_u32 v248, v82, 16, 1                                 // 0000000072C8: D1C800F8 02052152
	v_add3_u32 v248, v82, v248, v251                           // 0000000072D0: D1FF00F8 07EFF152
	v_cndmask_b32_e64 v28, v248, v250, s[78:79]                // 0000000072D8: D100001C 013BF5F8
	v_lshrrev_b32_e32 v28, 16, v28                             // 0000000072E0: 20383890
	v_cmp_u_f32_e64 s[78:79], v83, v83                         // 0000000072E4: D048004E 0002A753
	v_bfe_u32 v248, v83, 16, 1                                 // 0000000072EC: D1C800F8 02052153
	v_add3_u32 v248, v83, v248, v251                           // 0000000072F4: D1FF00F8 07EFF153
	v_cndmask_b32_e64 v29, v248, v250, s[78:79]                // 0000000072FC: D100001D 013BF5F8
	v_and_or_b32 v77, v29, v249, v28                           // 000000007304: D201004D 0473F31D
	v_mfma_f32_16x16x16_bf16 v[212:215], v[122:123], v[146:147], v[212:215]// 00000000730C: D3E100D4 0753257A
	v_mov_b32_dpp v16, v75 quad_perm:[1,0,3,2] row_mask:0xf bank_mask:0xf// 000000007314: 7E2002FA FF00B14B
	v_perm_b32 v51, v16, v75, v15                              // 00000000731C: D1ED0033 043E9710
	v_mov_b32_dpp v16, v76 quad_perm:[1,0,3,2] row_mask:0xf bank_mask:0xf// 000000007324: 7E2002FA FF00B14C
	v_mfma_f32_16x16x16_bf16 v[216:219], v[108:109], v[148:149], v[216:219]// 00000000732C: D3E100D8 0763296C
	v_perm_b32 v52, v16, v76, v15                              // 000000007334: D1ED0034 043E9910
	v_mov_b32_dpp v16, v77 quad_perm:[1,0,3,2] row_mask:0xf bank_mask:0xf// 00000000733C: 7E2002FA FF00B14D
	v_perm_b32 v53, v16, v77, v15                              // 000000007344: D1ED0035 043E9B10
	v_mfma_f32_16x16x16_bf16 v[220:223], v[110:111], v[148:149], v[220:223]// 00000000734C: D3E100DC 0773296E
	ds_write_b32 v18, v51 offset:20256                         // 000000007354: D81A4F20 00003312
	v_mfma_f32_16x16x16_bf16 v[224:227], v[112:113], v[148:149], v[224:227]// 00000000735C: D3E100E0 07832970
	v_mfma_f32_16x16x16_bf16 v[228:231], v[114:115], v[148:149], v[228:231]// 000000007364: D3E100E4 07932972
	ds_write_b32 v18, v52 offset:22016                         // 00000000736C: D81A5600 00003412
	ds_write_b32 v18, v53 offset:22560                         // 000000007374: D81A5820 00003512
	v_mfma_f32_16x16x16_bf16 v[232:235], v[116:117], v[148:149], v[232:235]// 00000000737C: D3E100E8 07A32974
	v_mfma_f32_16x16x16_bf16 v[236:239], v[118:119], v[148:149], v[236:239]// 000000007384: D3E100EC 07B32976
	ds_write_b32 v13, v84 offset:4352                          // 00000000738C: D81A1100 0000540D
	ds_write_b32 v13, v85 offset:5408                          // 000000007394: D81A1520 0000550D
	v_mfma_f32_16x16x16_bf16 v[240:243], v[120:121], v[148:149], v[240:243]// 00000000739C: D3E100F0 07C32978
	s_nop 0                                                    // 0000000073A4: BF800000
	s_nop 0                                                    // 0000000073A8: BF800000
	s_nop 0                                                    // 0000000073AC: BF800000
	v_mfma_f32_16x16x16_bf16 v[244:247], v[122:123], v[148:149], v[244:247]// 0000000073B0: D3E100F4 07D3297A
	ds_write_b32 v13, v86 offset:4480                          // 0000000073B8: D81A1180 0000560D
	ds_write_b32 v13, v87 offset:5536                          // 0000000073C0: D81A15A0 0000570D
	s_barrier                                                  // 0000000073C8: BF8A0000
	v_mfma_f32_16x16x16_bf16 a[160:163], a[144:145], v[72:73], a[160:163]// 0000000073CC: D3E180A0 0E829190
	buffer_atomic_add_f32 v136, v7, s[32:35], 0 offen          // 0000000073D4: E1341000 80088807
	v_mfma_f32_16x16x16_bf16 a[164:167], a[146:147], v[72:73], a[164:167]// 0000000073DC: D3E180A4 0E929192
	ds_read_b32 v124, v21 offset:51200                         // 0000000073E4: D86CC800 7C000015
	ds_read_b32 v150, v21 offset:51456                         // 0000000073EC: D86CC900 96000015
	v_mfma_f32_16x16x16_bf16 a[168:171], a[148:149], v[72:73], a[168:171]// 0000000073F4: D3E180A8 0EA29194
	s_waitcnt lgkmcnt(6)                                       // 0000000073FC: BF8CC67F
	s_barrier                                                  // 000000007400: BF8A0000
	v_mfma_f32_16x16x16_bf16 a[172:175], a[150:151], v[72:73], a[172:175]// 000000007404: D3E180AC 0EB29196
	ds_read_b128 v[48:51], v17 offset:17408                    // 00000000740C: D9FE4400 30000011
	v_mfma_f32_16x16x16_bf16 a[176:179], a[152:153], v[72:73], a[176:179]// 000000007414: D3E180B0 0EC29198
	v_mfma_f32_16x16x16_bf16 a[180:183], a[154:155], v[72:73], a[180:183]// 00000000741C: D3E180B4 0ED2919A
	ds_read_b128 v[52:55], v17 offset:18560                    // 000000007424: D9FE4880 34000011
	v_mfma_f32_16x16x16_bf16 a[184:187], a[156:157], v[72:73], a[184:187]// 00000000742C: D3E180B8 0EE2919C
	buffer_atomic_add_f32 v137, v8, s[32:35], 0 offen          // 000000007434: E1341000 80088908
	v_mfma_f32_16x16x16_bf16 a[188:191], a[158:159], v[72:73], a[188:191]// 00000000743C: D3E180BC 0EF2919E
	ds_read_b128 v[56:59], v17 offset:19712                    // 000000007444: D9FE4D00 38000011
	v_mfma_f32_16x16x16_bf16 a[192:195], a[144:145], v[74:75], a[192:195]// 00000000744C: D3E180C0 0F029590
	v_mfma_f32_16x16x16_bf16 a[196:199], a[146:147], v[74:75], a[196:199]// 000000007454: D3E180C4 0F129592
	ds_read_b128 v[60:63], v17 offset:20864                    // 00000000745C: D9FE5180 3C000011
	v_mfma_f32_16x16x16_bf16 a[200:203], a[148:149], v[74:75], a[200:203]// 000000007464: D3E180C8 0F229594
	v_mfma_f32_16x16x16_bf16 a[204:207], a[150:151], v[74:75], a[204:207]// 00000000746C: D3E180CC 0F329596
	ds_read_b128 v[64:67], v17 offset:22016                    // 000000007474: D9FE5600 40000011
	v_mfma_f32_16x16x16_bf16 a[208:211], a[152:153], v[74:75], a[208:211]// 00000000747C: D3E180D0 0F429598
	buffer_atomic_add_f32 v138, v7, s[32:35], 0 offen offset:128// 000000007484: E1341080 80088A07
	v_mfma_f32_16x16x16_bf16 a[212:215], a[154:155], v[74:75], a[212:215]// 00000000748C: D3E180D4 0F52959A
	ds_read_b128 v[68:71], v17 offset:23168                    // 000000007494: D9FE5A80 44000011
	v_mfma_f32_16x16x16_bf16 a[216:219], a[156:157], v[74:75], a[216:219]// 00000000749C: D3E180D8 0F62959C
	v_mfma_f32_16x16x16_bf16 a[220:223], a[158:159], v[74:75], a[220:223]// 0000000074A4: D3E180DC 0F72959E
	ds_write_b32 v13, v88 offset:13056                         // 0000000074AC: D81A3300 0000580D
	v_mfma_f32_16x16x16_bf16 a[224:227], a[144:145], v[76:77], a[224:227]// 0000000074B4: D3E180E0 0F829990
	v_mfma_f32_16x16x16_bf16 a[228:231], a[146:147], v[76:77], a[228:231]// 0000000074BC: D3E180E4 0F929992
	ds_write_b32 v13, v89 offset:14112                         // 0000000074C4: D81A3720 0000590D
	v_mfma_f32_16x16x16_bf16 a[232:235], a[148:149], v[76:77], a[232:235]// 0000000074CC: D3E180E8 0FA29994
	buffer_atomic_add_f32 v139, v8, s[32:35], 0 offen offset:128// 0000000074D4: E1341080 80088B08
	v_mfma_f32_16x16x16_bf16 a[236:239], a[150:151], v[76:77], a[236:239]// 0000000074DC: D3E180EC 0FB29996
	ds_write_b32 v13, v90 offset:13184                         // 0000000074E4: D81A3380 00005A0D
	v_mfma_f32_16x16x16_bf16 a[240:243], a[152:153], v[76:77], a[240:243]// 0000000074EC: D3E180F0 0FC29998
	v_mfma_f32_16x16x16_bf16 a[244:247], a[154:155], v[76:77], a[244:247]// 0000000074F4: D3E180F4 0FD2999A
	ds_write_b32 v13, v91 offset:14240                         // 0000000074FC: D81A37A0 00005B0D
	v_mfma_f32_16x16x16_bf16 a[248:251], a[156:157], v[76:77], a[248:251]// 000000007504: D3E180F8 0FE2999C
	v_mfma_f32_16x16x16_bf16 a[252:255], a[158:159], v[76:77], a[252:255]// 00000000750C: D3E180FC 0FF2999E
	s_waitcnt vmcnt(8) lgkmcnt(4)                              // 000000007514: BF8C0478
	s_barrier                                                  // 000000007518: BF8A0000
	v_mfma_f32_16x16x16_bf16 v[128:131], v[48:49], a[48:49], 0 // 00000000751C: D3E10080 12026130
	v_mul_f32_e32 v124, s48, v124                              // 000000007524: 0AF8F830
	s_nop 0                                                    // 000000007528: BF800000
	v_mfma_f32_16x16x16_bf16 v[128:131], v[50:51], a[52:53], v[128:131]// 00000000752C: D3E10080 16026932
	ds_read_b128 a[144:147], v10                               // 000000007534: DBFE0000 9000000A
	v_mov_b32_e32 v36, 0                                       // 00000000753C: 7E480280
	s_mov_b64 exec, s[82:83]                                   // 000000007540: BEFE0152
	buffer_load_dword v36, v1, s[8:11], 0 idxen                // 000000007544: E0502000 80022401
	s_mov_b32 exec_lo, -1                                      // 00000000754C: BEFE00C1
	s_mov_b32 exec_hi, -1                                      // 000000007550: BEFF00C1
	v_mfma_f32_16x16x16_bf16 v[128:131], v[52:53], a[56:57], v[128:131]// 000000007554: D3E10080 16027134
	v_mfma_f32_16x16x16_bf16 v[128:131], v[54:55], a[60:61], v[128:131]// 00000000755C: D3E10080 16027936
	ds_read_b128 a[148:151], v10 offset:512                    // 000000007564: DBFE0200 9400000A
	v_mov_b32_e32 v37, 0                                       // 00000000756C: 7E4A0280
	s_mov_b64 exec, s[82:83]                                   // 000000007570: BEFE0152
	buffer_load_dword v37, v2, s[8:11], 0 idxen                // 000000007574: E0502000 80022502
	s_mov_b32 exec_lo, -1                                      // 00000000757C: BEFE00C1
	s_mov_b32 exec_hi, -1                                      // 000000007580: BEFF00C1
	v_mfma_f32_16x16x16_bf16 v[128:131], v[56:57], a[64:65], v[128:131]// 000000007584: D3E10080 16028138
	v_perm_b32 v84, v33, v32, s63                              // 00000000758C: D1ED0054 00FE4121
	v_perm_b32 v85, v33, v32, s64                              // 000000007594: D1ED0055 01024121
	v_mfma_f32_16x16x16_bf16 v[128:131], v[58:59], a[68:69], v[128:131]// 00000000759C: D3E10080 1602893A
	ds_read_b128 a[152:155], v10 offset:2176                   // 0000000075A4: DBFE0880 9800000A
	v_mov_b32_e32 v38, 0                                       // 0000000075AC: 7E4C0280
	s_mov_b64 exec, s[82:83]                                   // 0000000075B0: BEFE0152
	buffer_load_dword v38, v3, s[8:11], 0 idxen                // 0000000075B4: E0502000 80022603
	s_mov_b32 exec_lo, -1                                      // 0000000075BC: BEFE00C1
	s_mov_b32 exec_hi, -1                                      // 0000000075C0: BEFF00C1
	v_mfma_f32_16x16x16_bf16 v[128:131], v[60:61], a[72:73], v[128:131]// 0000000075C4: D3E10080 1602913C
	v_perm_b32 v86, v35, v34, s63                              // 0000000075CC: D1ED0056 00FE4523
	v_perm_b32 v87, v35, v34, s64                              // 0000000075D4: D1ED0057 01024523
	v_mfma_f32_16x16x16_bf16 v[128:131], v[62:63], a[76:77], v[128:131]// 0000000075DC: D3E10080 1602993E
	ds_read_b128 a[156:159], v10 offset:2688                   // 0000000075E4: DBFE0A80 9C00000A
	v_mov_b32_e32 v39, 0                                       // 0000000075EC: 7E4E0280
	s_mov_b64 exec, s[82:83]                                   // 0000000075F0: BEFE0152
	buffer_load_dword v39, v4, s[8:11], 0 idxen                // 0000000075F4: E0502000 80022704
	s_mov_b32 exec_lo, -1                                      // 0000000075FC: BEFE00C1
	s_mov_b32 exec_hi, -1                                      // 000000007600: BEFF00C1
	v_mfma_f32_16x16x16_bf16 v[128:131], v[64:65], a[80:81], v[128:131]// 000000007604: D3E10080 1602A140
	v_perm_b32 v88, v41, v40, s63                              // 00000000760C: D1ED0058 00FE5129
	v_perm_b32 v89, v41, v40, s64                              // 000000007614: D1ED0059 01025129
	v_mfma_f32_16x16x16_bf16 v[128:131], v[66:67], a[84:85], v[128:131]// 00000000761C: D3E10080 1602A942
	ds_read_b128 v[92:95], v10 offset:8704                     // 000000007624: D9FE2200 5C00000A
	v_mov_b32_e32 v44, 0                                       // 00000000762C: 7E580280
	s_mov_b64 exec, s[82:83]                                   // 000000007630: BEFE0152
	buffer_load_dword v44, v252, s[20:23], 0 idxen             // 000000007634: E0502000 80052CFC
	s_mov_b32 exec_lo, -1                                      // 00000000763C: BEFE00C1
	s_mov_b32 exec_hi, -1                                      // 000000007640: BEFF00C1
	v_mfma_f32_16x16x16_bf16 v[128:131], v[68:69], a[88:89], v[128:131]// 000000007644: D3E10080 1602B144
	v_perm_b32 v90, v43, v42, s63                              // 00000000764C: D1ED005A 00FE552B
	v_perm_b32 v91, v43, v42, s64                              // 000000007654: D1ED005B 0102552B
	v_mfma_f32_16x16x16_bf16 v[128:131], v[70:71], a[92:93], v[128:131]// 00000000765C: D3E10080 1602B946
	ds_read_b128 v[96:99], v10 offset:9216                     // 000000007664: D9FE2400 6000000A
	v_mov_b32_e32 v45, 0                                       // 00000000766C: 7E5A0280
	s_mov_b64 exec, s[82:83]                                   // 000000007670: BEFE0152
	buffer_load_dword v45, v253, s[20:23], 0 idxen             // 000000007674: E0502000 80052DFD
	s_mov_b32 exec_lo, -1                                      // 00000000767C: BEFE00C1
	s_mov_b32 exec_hi, -1                                      // 000000007680: BEFF00C1
	v_mfma_f32_16x16x16_bf16 v[132:135], v[48:49], a[50:51], 0 // 000000007684: D3E10084 12026530
	v_mov_b32_dpp v127, v124 quad_perm:[3,3,3,3] row_mask:0xf bank_mask:0xf// 00000000768C: 7EFE02FA FF00FF7C
	v_mov_b32_dpp v126, v124 quad_perm:[2,2,2,2] row_mask:0xf bank_mask:0xf// 000000007694: 7EFC02FA FF00AA7C
	v_mfma_f32_16x16x16_bf16 v[132:135], v[50:51], a[54:55], v[132:135]// 00000000769C: D3E10084 16126D32
	ds_read_b128 v[100:103], v10 offset:10880                  // 0000000076A4: D9FE2A80 6400000A
	v_mov_b32_e32 v46, 0                                       // 0000000076AC: 7E5C0280
	s_mov_b64 exec, s[82:83]                                   // 0000000076B0: BEFE0152
	buffer_load_dword v46, v254, s[20:23], 0 idxen             // 0000000076B4: E0502000 80052EFE
	s_mov_b32 exec_lo, -1                                      // 0000000076BC: BEFE00C1
	s_mov_b32 exec_hi, -1                                      // 0000000076C0: BEFF00C1
	v_mfma_f32_16x16x16_bf16 v[132:135], v[52:53], a[58:59], v[132:135]// 0000000076C4: D3E10084 16127534
	v_mov_b32_dpp v125, v124 quad_perm:[1,1,1,1] row_mask:0xf bank_mask:0xf// 0000000076CC: 7EFA02FA FF00557C
	v_mov_b32_dpp v124, v124 quad_perm:[0,0,0,0] row_mask:0xf bank_mask:0xf// 0000000076D4: 7EF802FA FF00007C
	s_add_u32 s60, 64, s59                                     // 0000000076DC: 803C3BC0
	v_mfma_f32_16x16x16_bf16 v[132:135], v[54:55], a[62:63], v[132:135]// 0000000076E0: D3E10084 16127D36
	ds_read_b128 v[104:107], v10 offset:11392                  // 0000000076E8: D9FE2C80 6800000A
	v_mov_b32_e32 v47, 0                                       // 0000000076F0: 7E5E0280
	s_mov_b64 exec, s[82:83]                                   // 0000000076F4: BEFE0152
	buffer_load_dword v47, v255, s[20:23], 0 idxen             // 0000000076F8: E0502000 80052FFF
	s_mov_b32 exec_lo, -1                                      // 000000007700: BEFE00C1
	s_mov_b32 exec_hi, -1                                      // 000000007704: BEFF00C1
	v_mfma_f32_16x16x16_bf16 v[132:135], v[56:57], a[66:67], v[132:135]// 000000007708: D3E10084 16128538
	s_cmp_lt_u32 s60, s58                                      // 000000007710: BF0A3A3C
	s_cselect_b32 s68, s68, 0                                  // 000000007714: 85448044
	s_cselect_b32 s100, s100, 0                                // 000000007718: 85648064
	s_cselect_b32 s69, s69, 0                                  // 00000000771C: 85458045
	v_mfma_f32_16x16x16_bf16 v[132:135], v[58:59], a[70:71], v[132:135]// 000000007720: D3E10084 16128D3A
	buffer_load_dword v9, s[24:27], 0 idxen lds                // 000000007728: E0512000 80060009
	v_mfma_f32_16x16x16_bf16 v[132:135], v[60:61], a[74:75], v[132:135]// 000000007730: D3E10084 1612953C
	v_add_u32_e32 v1, s68, v1                                  // 000000007738: 68020244
	v_add_u32_e32 v2, s68, v2                                  // 00000000773C: 68040444
	v_add_u32_e32 v3, s68, v3                                  // 000000007740: 68060644
	v_add_u32_e32 v4, s68, v4                                  // 000000007744: 68080844
	v_mfma_f32_16x16x16_bf16 v[132:135], v[62:63], a[78:79], v[132:135]// 000000007748: D3E10084 16129D3E
	v_add_u32_e32 v252, s100, v252                             // 000000007750: 69F9F864
	v_add_u32_e32 v253, s100, v253                             // 000000007754: 69FBFA64
	v_add_u32_e32 v254, s100, v254                             // 000000007758: 69FDFC64
	v_add_u32_e32 v255, s100, v255                             // 00000000775C: 69FFFE64
	v_mfma_f32_16x16x16_bf16 v[132:135], v[64:65], a[82:83], v[132:135]// 000000007760: D3E10084 1612A540
	s_mov_b32 m0, s80                                          // 000000007768: BEFC0050
	v_add_u32_e32 v9, s69, v9                                  // 00000000776C: 68121245
	v_mfma_f32_16x16x16_bf16 v[132:135], v[66:67], a[86:87], v[132:135]// 000000007770: D3E10084 1612AD42
	s_cmp_ge_u32 s59, s73                                      // 000000007778: BF09493B
	s_cselect_b32 s66, s67, s66                                // 00000000777C: 85424243
	v_mfma_f32_16x16x16_bf16 v[132:135], v[68:69], a[90:91], v[132:135]// 000000007780: D3E10084 1612B544
	s_addk_i32 s59, 0x10                                       // 000000007788: B73B0010
	s_nop 0                                                    // 00000000778C: BF800000
	s_cmp_lt_i32 s59, s58                                      // 000000007790: BF043A3B
	v_mfma_f32_16x16x16_bf16 v[132:135], v[70:71], a[94:95], v[132:135]// 000000007794: D3E10084 1612BD46
	s_cbranch_scc0 label_1264                                  // 00000000779C: BF8403F2
	s_waitcnt lgkmcnt(0)                                       // 0000000077A0: BF8CC07F
	s_barrier                                                  // 0000000077A4: BF8A0000
	v_mfma_f32_16x16x16_bf16 v[48:51], a[144:145], a[0:1], 0   // 0000000077A8: D3E10030 1A020190
	ds_write_b32 v11, v40 offset:8704                          // 0000000077B0: D81A2200 0000280B
	ds_write_b32 v11, v41 offset:9760                          // 0000000077B8: D81A2620 0000290B
	v_mfma_f32_16x16x16_bf16 v[48:51], a[146:147], a[2:3], v[48:51]// 0000000077C0: D3E10030 1CC20592
	v_mul_f32_e32 v128, s47, v128                              // 0000000077C8: 0B01002F
	v_mul_f32_e32 v129, s47, v129                              // 0000000077CC: 0B03022F
	v_mfma_f32_16x16x16_bf16 v[48:51], a[148:149], a[4:5], v[48:51]// 0000000077D0: D3E10030 1CC20994
	ds_write_b32 v11, v42 offset:8832                          // 0000000077D8: D81A2280 00002A0B
	ds_write_b32 v11, v43 offset:9888                          // 0000000077E0: D81A26A0 00002B0B
	v_mfma_f32_16x16x16_bf16 v[48:51], a[150:151], a[6:7], v[48:51]// 0000000077E8: D3E10030 1CC20D96
	v_mul_f32_e32 v130, s47, v130                              // 0000000077F0: 0B05042F
	v_mul_f32_e32 v131, s47, v131                              // 0000000077F4: 0B07062F
	v_mfma_f32_16x16x16_bf16 v[48:51], a[152:153], a[8:9], v[48:51]// 0000000077F8: D3E10030 1CC21198
	ds_write_b64 v20, v[128:129] offset:24320                  // 000000007800: D89A5F00 00008014
	v_mfma_f32_16x16x16_bf16 v[48:51], a[154:155], a[10:11], v[48:51]// 000000007808: D3E10030 1CC2159A
	v_mul_f32_e32 v132, s47, v132                              // 000000007810: 0B09082F
	v_mul_f32_e32 v133, s47, v133                              // 000000007814: 0B0B0A2F
	v_mfma_f32_16x16x16_bf16 v[48:51], a[156:157], a[12:13], v[48:51]// 000000007818: D3E10030 1CC2199C
	ds_write_b64 v20, v[130:131] offset:24832                  // 000000007820: D89A6100 00008214
	v_mfma_f32_16x16x16_bf16 v[48:51], a[158:159], a[14:15], v[48:51]// 000000007828: D3E10030 1CC21D9E
	v_mul_f32_e32 v134, s47, v134                              // 000000007830: 0B0D0C2F
	v_mul_f32_e32 v135, s47, v135                              // 000000007834: 0B0F0E2F
	v_mfma_f32_16x16x16_bf16 v[52:55], a[144:145], a[16:17], 0 // 000000007838: D3E10034 1A022190
	ds_write_b64 v20, v[132:133] offset:25344                  // 000000007840: D89A6300 00008414
	v_mfma_f32_16x16x16_bf16 v[52:55], a[146:147], a[18:19], v[52:55]// 000000007848: D3E10034 1CD22592
	buffer_atomic_add_f32 v140, v7, s[32:35], 0 offen offset:256// 000000007850: E1341100 80088C07
	v_mfma_f32_16x16x16_bf16 v[52:55], a[148:149], a[20:21], v[52:55]// 000000007858: D3E10034 1CD22994
	ds_write_b64 v20, v[134:135] offset:25856                  // 000000007860: D89A6500 00008614
	v_mfma_f32_16x16x16_bf16 v[52:55], a[150:151], a[22:23], v[52:55]// 000000007868: D3E10034 1CD22D96
	v_mfma_f32_16x16x16_bf16 v[52:55], a[152:153], a[24:25], v[52:55]// 000000007870: D3E10034 1CD23198
	ds_read_b128 v[108:111], v12 offset:13056                  // 000000007878: D9FE3300 6C00000C
	ds_write_b32 v11, v32                                      // 000000007880: D81A0000 0000200B
	v_mfma_f32_16x16x16_bf16 v[52:55], a[154:155], a[26:27], v[52:55]// 000000007888: D3E10034 1CD2359A
	buffer_atomic_add_f32 v141, v8, s[32:35], 0 offen offset:256// 000000007890: E1341100 80088D08
	v_mfma_f32_16x16x16_bf16 v[52:55], a[156:157], a[28:29], v[52:55]// 000000007898: D3E10034 1CD2399C
	v_mfma_f32_16x16x16_bf16 v[52:55], a[158:159], a[30:31], v[52:55]// 0000000078A0: D3E10034 1CD23D9E
	ds_read_b128 v[112:115], v12 offset:13568                  // 0000000078A8: D9FE3500 7000000C
	ds_write_b32 v11, v33 offset:1056                          // 0000000078B0: D81A0420 0000210B
	v_mfma_f32_16x16x16_bf16 v[56:59], a[144:145], a[32:33], 0 // 0000000078B8: D3E10038 1A024190
	buffer_atomic_add_f32 v142, v7, s[32:35], 0 offen offset:384// 0000000078C0: E1341180 80088E07
	v_mfma_f32_16x16x16_bf16 v[56:59], a[146:147], a[34:35], v[56:59]// 0000000078C8: D3E10038 1CE24592
	v_mfma_f32_16x16x16_bf16 v[56:59], a[148:149], a[36:37], v[56:59]// 0000000078D0: D3E10038 1CE24994
	ds_read_b128 v[116:119], v12 offset:15232                  // 0000000078D8: D9FE3B80 7400000C
	ds_write_b32 v11, v34 offset:128                           // 0000000078E0: D81A0080 0000220B
	v_mfma_f32_16x16x16_bf16 v[56:59], a[150:151], a[38:39], v[56:59]// 0000000078E8: D3E10038 1CE24D96
	v_mfma_f32_16x16x16_bf16 v[56:59], a[152:153], a[40:41], v[56:59]// 0000000078F0: D3E10038 1CE25198
	buffer_atomic_add_f32 v143, v8, s[32:35], 0 offen offset:384// 0000000078F8: E1341180 80088F08
	v_mfma_f32_16x16x16_bf16 v[56:59], a[154:155], a[42:43], v[56:59]// 000000007900: D3E10038 1CE2559A
	ds_read_b128 v[120:123], v12 offset:15744                  // 000000007908: D9FE3D80 7800000C
	ds_write_b32 v11, v35 offset:1184                          // 000000007910: D81A04A0 0000230B
	v_mfma_f32_16x16x16_bf16 v[56:59], a[156:157], a[44:45], v[56:59]// 000000007918: D3E10038 1CE2599C
	v_mfma_f32_16x16x16_bf16 v[56:59], a[158:159], a[46:47], v[56:59]// 000000007920: D3E10038 1CE25D9E
	s_cmp_lt_i32 s74, 12                                       // 000000007928: BF048C4A
	s_cbranch_scc0 label_0F46                                  // 00000000792C: BF840075
	s_mov_b32 s60, 0xffe0fffe                                  // 000000007930: BEBC00FF FFE0FFFE
	s_mov_b32 s61, 0xe000fe00                                  // 000000007938: BEBD00FF E000FE00
	s_nop 0                                                    // 000000007940: BF800000
	s_add_u32 s62, 0, s46                                      // 000000007944: 803E2E80
	s_cmp_lt_i32 s74, s62                                      // 000000007948: BF043E4A
	s_cbranch_scc1 label_0F01                                  // 00000000794C: BF850028
	s_cmp_eq_i32 s74, s62                                      // 000000007950: BF003E4A
	s_cbranch_scc1 label_0EE6                                  // 000000007954: BF85000B
	s_add_u32 s62, 4, s46                                      // 000000007958: 803E2E84
	s_cmp_lt_i32 s74, s62                                      // 00000000795C: BF043E4A
	s_cbranch_scc1 label_0F21                                  // 000000007960: BF850043
	s_cmp_eq_i32 s74, s62                                      // 000000007964: BF003E4A
	s_cbranch_scc1 label_0F06                                  // 000000007968: BF850026
	s_add_u32 s62, 8, s46                                      // 00000000796C: 803E2E88
	s_cmp_lt_i32 s74, s62                                      // 000000007970: BF043E4A
	s_cbranch_scc1 label_0F41                                  // 000000007974: BF85005E
	s_cmp_eq_i32 s74, s62                                      // 000000007978: BF003E4A
	s_cbranch_scc1 label_0F26                                  // 00000000797C: BF850041
	s_branch label_0F46                                        // 000000007980: BF820060

0000000000007984 <label_0EE6>:
	v_cndmask_b32_e64 v48, v48, v151, s[60:61]                 // 000000007984: D1000030 00F32F30
	s_lshl_b32 s60, s60, 1                                     // 00000000798C: 8E3C813C
	s_lshl_b32 s61, s61, 1                                     // 000000007990: 8E3D813D
	s_and_b32 s60, 0xfffeffff, s60                             // 000000007994: 863C3CFF FFFEFFFF
	s_and_b32 s61, 0xfffeffff, s61                             // 00000000799C: 863D3DFF FFFEFFFF
	v_cndmask_b32_e64 v49, v49, v151, s[60:61]                 // 0000000079A4: D1000031 00F32F31
	s_lshl_b32 s60, s60, 1                                     // 0000000079AC: 8E3C813C
	s_lshl_b32 s61, s61, 1                                     // 0000000079B0: 8E3D813D
	s_and_b32 s60, 0xfffeffff, s60                             // 0000000079B4: 863C3CFF FFFEFFFF
	s_and_b32 s61, 0xfffeffff, s61                             // 0000000079BC: 863D3DFF FFFEFFFF
	v_cndmask_b32_e64 v50, v50, v151, s[60:61]                 // 0000000079C4: D1000032 00F32F32
	s_lshl_b32 s60, s60, 1                                     // 0000000079CC: 8E3C813C
	s_lshl_b32 s61, s61, 1                                     // 0000000079D0: 8E3D813D
	s_and_b32 s60, 0xfffeffff, s60                             // 0000000079D4: 863C3CFF FFFEFFFF
	s_and_b32 s61, 0xfffeffff, s61                             // 0000000079DC: 863D3DFF FFFEFFFF
	v_cndmask_b32_e64 v51, v51, v151, s[60:61]                 // 0000000079E4: D1000033 00F32F33
	s_branch label_0F21                                        // 0000000079EC: BF820020

00000000000079f0 <label_0F01>:
	v_mov_b32_e32 v48, v151                                    // 0000000079F0: 7E600397
	v_mov_b32_e32 v49, v151                                    // 0000000079F4: 7E620397
	v_mov_b32_e32 v50, v151                                    // 0000000079F8: 7E640397
	v_mov_b32_e32 v51, v151                                    // 0000000079FC: 7E660397
	s_branch label_0F21                                        // 000000007A00: BF82001B

0000000000007a04 <label_0F06>:
	v_cndmask_b32_e64 v52, v52, v151, s[60:61]                 // 000000007A04: D1000034 00F32F34
	s_lshl_b32 s60, s60, 1                                     // 000000007A0C: 8E3C813C
	s_lshl_b32 s61, s61, 1                                     // 000000007A10: 8E3D813D
	s_and_b32 s60, 0xfffeffff, s60                             // 000000007A14: 863C3CFF FFFEFFFF
	s_and_b32 s61, 0xfffeffff, s61                             // 000000007A1C: 863D3DFF FFFEFFFF
	v_cndmask_b32_e64 v53, v53, v151, s[60:61]                 // 000000007A24: D1000035 00F32F35
	s_lshl_b32 s60, s60, 1                                     // 000000007A2C: 8E3C813C
	s_lshl_b32 s61, s61, 1                                     // 000000007A30: 8E3D813D
	s_and_b32 s60, 0xfffeffff, s60                             // 000000007A34: 863C3CFF FFFEFFFF
	s_and_b32 s61, 0xfffeffff, s61                             // 000000007A3C: 863D3DFF FFFEFFFF
	v_cndmask_b32_e64 v54, v54, v151, s[60:61]                 // 000000007A44: D1000036 00F32F36
	s_lshl_b32 s60, s60, 1                                     // 000000007A4C: 8E3C813C
	s_lshl_b32 s61, s61, 1                                     // 000000007A50: 8E3D813D
	s_and_b32 s60, 0xfffeffff, s60                             // 000000007A54: 863C3CFF FFFEFFFF
	s_and_b32 s61, 0xfffeffff, s61                             // 000000007A5C: 863D3DFF FFFEFFFF
	v_cndmask_b32_e64 v55, v55, v151, s[60:61]                 // 000000007A64: D1000037 00F32F37
	s_branch label_0F41                                        // 000000007A6C: BF820020

0000000000007a70 <label_0F21>:
	v_mov_b32_e32 v52, v151                                    // 000000007A70: 7E680397
	v_mov_b32_e32 v53, v151                                    // 000000007A74: 7E6A0397
	v_mov_b32_e32 v54, v151                                    // 000000007A78: 7E6C0397
	v_mov_b32_e32 v55, v151                                    // 000000007A7C: 7E6E0397
	s_branch label_0F41                                        // 000000007A80: BF82001B

0000000000007a84 <label_0F26>:
	v_cndmask_b32_e64 v56, v56, v151, s[60:61]                 // 000000007A84: D1000038 00F32F38
	s_lshl_b32 s60, s60, 1                                     // 000000007A8C: 8E3C813C
	s_lshl_b32 s61, s61, 1                                     // 000000007A90: 8E3D813D
	s_and_b32 s60, 0xfffeffff, s60                             // 000000007A94: 863C3CFF FFFEFFFF
	s_and_b32 s61, 0xfffeffff, s61                             // 000000007A9C: 863D3DFF FFFEFFFF
	v_cndmask_b32_e64 v57, v57, v151, s[60:61]                 // 000000007AA4: D1000039 00F32F39
	s_lshl_b32 s60, s60, 1                                     // 000000007AAC: 8E3C813C
	s_lshl_b32 s61, s61, 1                                     // 000000007AB0: 8E3D813D
	s_and_b32 s60, 0xfffeffff, s60                             // 000000007AB4: 863C3CFF FFFEFFFF
	s_and_b32 s61, 0xfffeffff, s61                             // 000000007ABC: 863D3DFF FFFEFFFF
	v_cndmask_b32_e64 v58, v58, v151, s[60:61]                 // 000000007AC4: D100003A 00F32F3A
	s_lshl_b32 s60, s60, 1                                     // 000000007ACC: 8E3C813C
	s_lshl_b32 s61, s61, 1                                     // 000000007AD0: 8E3D813D
	s_and_b32 s60, 0xfffeffff, s60                             // 000000007AD4: 863C3CFF FFFEFFFF
	s_and_b32 s61, 0xfffeffff, s61                             // 000000007ADC: 863D3DFF FFFEFFFF
	v_cndmask_b32_e64 v59, v59, v151, s[60:61]                 // 000000007AE4: D100003B 00F32F3B
	s_branch label_0F46                                        // 000000007AEC: BF820005

0000000000007af0 <label_0F41>:
	v_mov_b32_e32 v56, v151                                    // 000000007AF0: 7E700397
	v_mov_b32_e32 v57, v151                                    // 000000007AF4: 7E720397
	v_mov_b32_e32 v58, v151                                    // 000000007AF8: 7E740397
	v_mov_b32_e32 v59, v151                                    // 000000007AFC: 7E760397
	s_branch label_0F46                                        // 000000007B00: BF820000

0000000000007b04 <label_0F46>:
	s_cmp_lt_i32 s84, 0xc0                                     // 000000007B04: BF04FF54 000000C0
	s_cbranch_scc0 label_0F9B                                  // 000000007B0C: BF84004D
	s_cmp_le_i32 s84, 64                                       // 000000007B10: BF05C054
	s_cbranch_scc1 label_0F52                                  // 000000007B14: BF850007
	s_cmp_le_i32 s84, 0x80                                     // 000000007B18: BF05FF54 00000080
	s_cbranch_scc1 label_0F6A                                  // 000000007B20: BF850017
	s_cmp_lt_i32 s84, 0xc0                                     // 000000007B24: BF04FF54 000000C0
	s_cbranch_scc1 label_0F82                                  // 000000007B2C: BF85002C
	s_branch label_0F9B                                        // 000000007B30: BF820044

0000000000007b34 <label_0F52>:
	s_mov_b32 s60, 0                                           // 000000007B34: BEBC0080
	v_and_b32_e32 v28, 15, v0                                  // 000000007B38: 2638008F
	v_add_u32_e64 v28, v28, s60                                // 000000007B3C: D134001C 0000791C
	v_mul_i32_i24_e64 v29, s46, 16                             // 000000007B44: D106001D 0001202E
	v_add_u32_e32 v28, v28, v29                                // 000000007B4C: 68383B1C
	v_cmp_lt_u32_e64 s[60:61], v28, s84                        // 000000007B50: D0C9003C 0000A91C
	s_nop 1                                                    // 000000007B58: BF800001
	v_cndmask_b32_e64 v48, v151, v48, s[60:61]                 // 000000007B5C: D1000030 00F26197
	v_cndmask_b32_e64 v49, v151, v49, s[60:61]                 // 000000007B64: D1000031 00F26397
	v_cndmask_b32_e64 v50, v151, v50, s[60:61]                 // 000000007B6C: D1000032 00F26597
	v_cndmask_b32_e64 v51, v151, v51, s[60:61]                 // 000000007B74: D1000033 00F26797
	s_branch label_0F7D                                        // 000000007B7C: BF820013

0000000000007b80 <label_0F6A>:
	s_mov_b32 s60, 64                                          // 000000007B80: BEBC00C0
	v_and_b32_e32 v28, 15, v0                                  // 000000007B84: 2638008F
	v_add_u32_e64 v28, v28, s60                                // 000000007B88: D134001C 0000791C
	v_mul_i32_i24_e64 v29, s46, 16                             // 000000007B90: D106001D 0001202E
	v_add_u32_e32 v28, v28, v29                                // 000000007B98: 68383B1C
	v_cmp_lt_u32_e64 s[60:61], v28, s84                        // 000000007B9C: D0C9003C 0000A91C
	s_nop 1                                                    // 000000007BA4: BF800001
	v_cndmask_b32_e64 v52, v151, v52, s[60:61]                 // 000000007BA8: D1000034 00F26997
	v_cndmask_b32_e64 v53, v151, v53, s[60:61]                 // 000000007BB0: D1000035 00F26B97
	v_cndmask_b32_e64 v54, v151, v54, s[60:61]                 // 000000007BB8: D1000036 00F26D97
	v_cndmask_b32_e64 v55, v151, v55, s[60:61]                 // 000000007BC0: D1000037 00F26F97
	s_branch label_0F96                                        // 000000007BC8: BF820019

0000000000007bcc <label_0F7D>:
	v_mov_b32_e32 v52, v151                                    // 000000007BCC: 7E680397
	v_mov_b32_e32 v53, v151                                    // 000000007BD0: 7E6A0397
	v_mov_b32_e32 v54, v151                                    // 000000007BD4: 7E6C0397
	v_mov_b32_e32 v55, v151                                    // 000000007BD8: 7E6E0397
	s_branch label_0F96                                        // 000000007BDC: BF820014

0000000000007be0 <label_0F82>:
	s_mov_b32 s60, 0x80                                        // 000000007BE0: BEBC00FF 00000080
	v_and_b32_e32 v28, 15, v0                                  // 000000007BE8: 2638008F
	v_add_u32_e64 v28, v28, s60                                // 000000007BEC: D134001C 0000791C
	v_mul_i32_i24_e64 v29, s46, 16                             // 000000007BF4: D106001D 0001202E
	v_add_u32_e32 v28, v28, v29                                // 000000007BFC: 68383B1C
	v_cmp_lt_u32_e64 s[60:61], v28, s84                        // 000000007C00: D0C9003C 0000A91C
	s_nop 1                                                    // 000000007C08: BF800001
	v_cndmask_b32_e64 v56, v151, v56, s[60:61]                 // 000000007C0C: D1000038 00F27197
	v_cndmask_b32_e64 v57, v151, v57, s[60:61]                 // 000000007C14: D1000039 00F27397
	v_cndmask_b32_e64 v58, v151, v58, s[60:61]                 // 000000007C1C: D100003A 00F27597
	v_cndmask_b32_e64 v59, v151, v59, s[60:61]                 // 000000007C24: D100003B 00F27797
	s_branch label_0F9B                                        // 000000007C2C: BF820005

0000000000007c30 <label_0F96>:
	v_mov_b32_e32 v56, v151                                    // 000000007C30: 7E700397
	v_mov_b32_e32 v57, v151                                    // 000000007C34: 7E720397
	v_mov_b32_e32 v58, v151                                    // 000000007C38: 7E740397
	v_mov_b32_e32 v59, v151                                    // 000000007C3C: 7E760397
	s_branch label_0F9B                                        // 000000007C40: BF820000

0000000000007c44 <label_0F9B>:
	s_addk_i32 s74, 0x1                                        // 000000007C44: B74A0001
	s_waitcnt lgkmcnt(8)                                       // 000000007C48: BF8CC87F
	s_barrier                                                  // 000000007C4C: BF8A0000
	v_mfma_f32_16x16x16_bf16 v[72:75], v[92:93], a[96:97], 0   // 000000007C50: D3E10048 1202C15C
	ds_read_b128 a[144:147], v12 offset:4352                   // 000000007C58: DBFE1100 9000000C
	ds_read_b128 a[148:151], v12 offset:4864                   // 000000007C60: DBFE1300 9400000C
	v_mfma_f32_16x16x16_bf16 v[72:75], v[94:95], a[98:99], v[72:75]// 000000007C68: D3E10048 1522C55E
	v_fma_f32 v48, v48, s57, -v124                             // 000000007C70: D1CB0030 85F07330
	v_fma_f32 v49, v49, s57, -v125                             // 000000007C78: D1CB0031 85F47331
	v_fma_f32 v50, v50, s57, -v126                             // 000000007C80: D1CB0032 85F87332
	v_mfma_f32_16x16x16_bf16 v[72:75], v[96:97], a[100:101], v[72:75]// 000000007C88: D3E10048 1522C960
	v_fma_f32 v51, v51, s57, -v127                             // 000000007C90: D1CB0033 85FC7333
	v_fma_f32 v52, v52, s57, -v124                             // 000000007C98: D1CB0034 85F07334
	v_fma_f32 v53, v53, s57, -v125                             // 000000007CA0: D1CB0035 85F47335
	v_mfma_f32_16x16x16_bf16 v[72:75], v[98:99], a[102:103], v[72:75]// 000000007CA8: D3E10048 1522CD62
	v_fma_f32 v54, v54, s57, -v126                             // 000000007CB0: D1CB0036 85F87336
	v_fma_f32 v55, v55, s57, -v127                             // 000000007CB8: D1CB0037 85FC7337
	v_fma_f32 v56, v56, s57, -v124                             // 000000007CC0: D1CB0038 85F07338
	v_mfma_f32_16x16x16_bf16 v[72:75], v[100:101], a[104:105], v[72:75]// 000000007CC8: D3E10048 1522D164
	ds_read_b128 a[152:155], v12 offset:6528                   // 000000007CD0: DBFE1980 9800000C
	ds_read_b128 a[156:159], v12 offset:7040                   // 000000007CD8: DBFE1B80 9C00000C
	v_mfma_f32_16x16x16_bf16 v[72:75], v[102:103], a[106:107], v[72:75]// 000000007CE0: D3E10048 1522D566
	v_fma_f32 v57, v57, s57, -v125                             // 000000007CE8: D1CB0039 85F47339
	v_fma_f32 v58, v58, s57, -v126                             // 000000007CF0: D1CB003A 85F8733A
	v_fma_f32 v59, v59, s57, -v127                             // 000000007CF8: D1CB003B 85FC733B
	v_mfma_f32_16x16x16_bf16 v[72:75], v[104:105], a[108:109], v[72:75]// 000000007D00: D3E10048 1522D968
	v_exp_f32_e32 v48, v48                                     // 000000007D08: 7E604130
	v_mfma_f32_16x16x16_bf16 v[72:75], v[106:107], a[110:111], v[72:75]// 000000007D0C: D3E10048 1522DD6A
	v_exp_f32_e32 v49, v49                                     // 000000007D14: 7E624131
	v_mfma_f32_16x16x16_bf16 v[76:79], v[92:93], a[112:113], 0 // 000000007D18: D3E1004C 1202E15C
	ds_read_b64 v[136:137], v19 offset:24320                   // 000000007D20: D8EC5F00 88000013
	ds_read_b64 v[138:139], v19 offset:26368                   // 000000007D28: D8EC6700 8A000013
	v_mfma_f32_16x16x16_bf16 v[76:79], v[94:95], a[114:115], v[76:79]// 000000007D30: D3E1004C 1532E55E
	v_exp_f32_e32 v50, v50                                     // 000000007D38: 7E644132
	v_mfma_f32_16x16x16_bf16 v[76:79], v[96:97], a[116:117], v[76:79]// 000000007D3C: D3E1004C 1532E960
	ds_read_b64 v[140:141], v19 offset:28416                   // 000000007D44: D8EC6F00 8C000013
	ds_read_b64 v[142:143], v19 offset:30464                   // 000000007D4C: D8EC7700 8E000013
	v_mfma_f32_16x16x16_bf16 v[76:79], v[98:99], a[118:119], v[76:79]// 000000007D54: D3E1004C 1532ED62
	v_exp_f32_e32 v51, v51                                     // 000000007D5C: 7E664133
	v_mfma_f32_16x16x16_bf16 v[76:79], v[100:101], a[120:121], v[76:79]// 000000007D60: D3E1004C 1532F164
	v_exp_f32_e32 v52, v52                                     // 000000007D68: 7E684134
	v_mfma_f32_16x16x16_bf16 v[76:79], v[102:103], a[122:123], v[76:79]// 000000007D6C: D3E1004C 1532F566
	v_exp_f32_e32 v53, v53                                     // 000000007D74: 7E6A4135
	v_mfma_f32_16x16x16_bf16 v[76:79], v[104:105], a[124:125], v[76:79]// 000000007D78: D3E1004C 1532F968
	v_exp_f32_e32 v54, v54                                     // 000000007D80: 7E6C4136
	v_mfma_f32_16x16x16_bf16 v[76:79], v[106:107], a[126:127], v[76:79]// 000000007D84: D3E1004C 1532FD6A
	v_exp_f32_e32 v55, v55                                     // 000000007D8C: 7E6E4137
	v_mfma_f32_16x16x16_bf16 v[80:83], v[92:93], a[128:129], 0 // 000000007D90: D3E10050 1203015C
	v_exp_f32_e32 v56, v56                                     // 000000007D98: 7E704138
	v_mfma_f32_16x16x16_bf16 v[80:83], v[94:95], a[130:131], v[80:83]// 000000007D9C: D3E10050 1543055E
	v_exp_f32_e32 v57, v57                                     // 000000007DA4: 7E724139
	v_mfma_f32_16x16x16_bf16 v[80:83], v[96:97], a[132:133], v[80:83]// 000000007DA8: D3E10050 15430960
	v_exp_f32_e32 v58, v58                                     // 000000007DB0: 7E74413A
	v_mfma_f32_16x16x16_bf16 v[80:83], v[98:99], a[134:135], v[80:83]// 000000007DB4: D3E10050 15430D62
	v_exp_f32_e32 v59, v59                                     // 000000007DBC: 7E76413B
	v_mfma_f32_16x16x16_bf16 v[80:83], v[100:101], a[136:137], v[80:83]// 000000007DC0: D3E10050 15431164
	v_cmp_u_f32_e64 s[78:79], v48, v48                         // 000000007DC8: D048004E 00026130
	v_bfe_u32 v248, v48, 16, 1                                 // 000000007DD0: D1C800F8 02052130
	v_add3_u32 v248, v48, v248, v251                           // 000000007DD8: D1FF00F8 07EFF130
	v_cndmask_b32_e64 v28, v248, v250, s[78:79]                // 000000007DE0: D100001C 013BF5F8
	v_lshrrev_b32_e32 v28, 16, v28                             // 000000007DE8: 20383890
	v_cmp_u_f32_e64 s[78:79], v49, v49                         // 000000007DEC: D048004E 00026331
	v_bfe_u32 v248, v49, 16, 1                                 // 000000007DF4: D1C800F8 02052131
	v_add3_u32 v248, v49, v248, v251                           // 000000007DFC: D1FF00F8 07EFF131
	v_cndmask_b32_e64 v29, v248, v250, s[78:79]                // 000000007E04: D100001D 013BF5F8
	v_and_or_b32 v144, v29, v249, v28                          // 000000007E0C: D2010090 0473F31D
	v_cmp_u_f32_e64 s[78:79], v50, v50                         // 000000007E14: D048004E 00026532
	v_bfe_u32 v248, v50, 16, 1                                 // 000000007E1C: D1C800F8 02052132
	v_add3_u32 v248, v50, v248, v251                           // 000000007E24: D1FF00F8 07EFF132
	v_cndmask_b32_e64 v28, v248, v250, s[78:79]                // 000000007E2C: D100001C 013BF5F8
	v_lshrrev_b32_e32 v28, 16, v28                             // 000000007E34: 20383890
	v_cmp_u_f32_e64 s[78:79], v51, v51                         // 000000007E38: D048004E 00026733
	v_bfe_u32 v248, v51, 16, 1                                 // 000000007E40: D1C800F8 02052133
	v_add3_u32 v248, v51, v248, v251                           // 000000007E48: D1FF00F8 07EFF133
	v_cndmask_b32_e64 v29, v248, v250, s[78:79]                // 000000007E50: D100001D 013BF5F8
	v_and_or_b32 v145, v29, v249, v28                          // 000000007E58: D2010091 0473F31D
	v_cmp_u_f32_e64 s[78:79], v52, v52                         // 000000007E60: D048004E 00026934
	v_bfe_u32 v248, v52, 16, 1                                 // 000000007E68: D1C800F8 02052134
	v_add3_u32 v248, v52, v248, v251                           // 000000007E70: D1FF00F8 07EFF134
	v_cndmask_b32_e64 v28, v248, v250, s[78:79]                // 000000007E78: D100001C 013BF5F8
	v_lshrrev_b32_e32 v28, 16, v28                             // 000000007E80: 20383890
	v_cmp_u_f32_e64 s[78:79], v53, v53                         // 000000007E84: D048004E 00026B35
	v_bfe_u32 v248, v53, 16, 1                                 // 000000007E8C: D1C800F8 02052135
	v_add3_u32 v248, v53, v248, v251                           // 000000007E94: D1FF00F8 07EFF135
	v_cndmask_b32_e64 v29, v248, v250, s[78:79]                // 000000007E9C: D100001D 013BF5F8
	v_and_or_b32 v146, v29, v249, v28                          // 000000007EA4: D2010092 0473F31D
	v_mfma_f32_16x16x16_bf16 v[80:83], v[102:103], a[138:139], v[80:83]// 000000007EAC: D3E10050 15431566
	v_cmp_u_f32_e64 s[78:79], v54, v54                         // 000000007EB4: D048004E 00026D36
	v_bfe_u32 v248, v54, 16, 1                                 // 000000007EBC: D1C800F8 02052136
	v_add3_u32 v248, v54, v248, v251                           // 000000007EC4: D1FF00F8 07EFF136
	v_cndmask_b32_e64 v28, v248, v250, s[78:79]                // 000000007ECC: D100001C 013BF5F8
	v_lshrrev_b32_e32 v28, 16, v28                             // 000000007ED4: 20383890
	v_cmp_u_f32_e64 s[78:79], v55, v55                         // 000000007ED8: D048004E 00026F37
	v_bfe_u32 v248, v55, 16, 1                                 // 000000007EE0: D1C800F8 02052137
	v_add3_u32 v248, v55, v248, v251                           // 000000007EE8: D1FF00F8 07EFF137
	v_cndmask_b32_e64 v29, v248, v250, s[78:79]                // 000000007EF0: D100001D 013BF5F8
	v_and_or_b32 v147, v29, v249, v28                          // 000000007EF8: D2010093 0473F31D
	v_cmp_u_f32_e64 s[78:79], v56, v56                         // 000000007F00: D048004E 00027138
	v_bfe_u32 v248, v56, 16, 1                                 // 000000007F08: D1C800F8 02052138
	v_add3_u32 v248, v56, v248, v251                           // 000000007F10: D1FF00F8 07EFF138
	v_cndmask_b32_e64 v28, v248, v250, s[78:79]                // 000000007F18: D100001C 013BF5F8
	v_lshrrev_b32_e32 v28, 16, v28                             // 000000007F20: 20383890
	v_cmp_u_f32_e64 s[78:79], v57, v57                         // 000000007F24: D048004E 00027339
	v_bfe_u32 v248, v57, 16, 1                                 // 000000007F2C: D1C800F8 02052139
	v_add3_u32 v248, v57, v248, v251                           // 000000007F34: D1FF00F8 07EFF139
	v_cndmask_b32_e64 v29, v248, v250, s[78:79]                // 000000007F3C: D100001D 013BF5F8
	v_and_or_b32 v148, v29, v249, v28                          // 000000007F44: D2010094 0473F31D
	v_cmp_u_f32_e64 s[78:79], v58, v58                         // 000000007F4C: D048004E 0002753A
	v_bfe_u32 v248, v58, 16, 1                                 // 000000007F54: D1C800F8 0205213A
	v_add3_u32 v248, v58, v248, v251                           // 000000007F5C: D1FF00F8 07EFF13A
	v_cndmask_b32_e64 v28, v248, v250, s[78:79]                // 000000007F64: D100001C 013BF5F8
	v_lshrrev_b32_e32 v28, 16, v28                             // 000000007F6C: 20383890
	v_cmp_u_f32_e64 s[78:79], v59, v59                         // 000000007F70: D048004E 0002773B
	v_bfe_u32 v248, v59, 16, 1                                 // 000000007F78: D1C800F8 0205213B
	v_add3_u32 v248, v59, v248, v251                           // 000000007F80: D1FF00F8 07EFF13B
	v_cndmask_b32_e64 v29, v248, v250, s[78:79]                // 000000007F88: D100001D 013BF5F8
	v_and_or_b32 v149, v29, v249, v28                          // 000000007F90: D2010095 0473F31D
	v_mfma_f32_16x16x16_bf16 v[80:83], v[104:105], a[140:141], v[80:83]// 000000007F98: D3E10050 15431968
	v_add_u32_e32 v7, s66, v7                                  // 000000007FA0: 680E0E42
	v_add_u32_e32 v8, s66, v8                                  // 000000007FA4: 68101042
	v_mfma_f32_16x16x16_bf16 v[80:83], v[106:107], a[142:143], v[80:83]// 000000007FA8: D3E10050 15431D6A
	s_waitcnt lgkmcnt(0)                                       // 000000007FB0: BF8CC07F
	s_barrier                                                  // 000000007FB4: BF8A0000
	v_mfma_f32_16x16x16_bf16 v[152:155], v[108:109], v[144:145], v[152:155]// 000000007FB8: D3E10098 0663216C
	v_subrev_f32_dpp v72, v150, v72 quad_perm:[0,0,0,0] row_mask:0xf bank_mask:0xf// 000000007FC0: 069090FA FF000096
	v_subrev_f32_dpp v73, v150, v73 quad_perm:[1,1,1,1] row_mask:0xf bank_mask:0xf// 000000007FC8: 069292FA FF005596
	v_subrev_f32_dpp v74, v150, v74 quad_perm:[2,2,2,2] row_mask:0xf bank_mask:0xf// 000000007FD0: 069494FA FF00AA96
	v_mfma_f32_16x16x16_bf16 v[156:159], v[110:111], v[144:145], v[156:159]// 000000007FD8: D3E1009C 0673216E
	v_subrev_f32_dpp v75, v150, v75 quad_perm:[3,3,3,3] row_mask:0xf bank_mask:0xf// 000000007FE0: 069696FA FF00FF96
	v_subrev_f32_dpp v76, v150, v76 quad_perm:[0,0,0,0] row_mask:0xf bank_mask:0xf// 000000007FE8: 069898FA FF000096
	v_subrev_f32_dpp v77, v150, v77 quad_perm:[1,1,1,1] row_mask:0xf bank_mask:0xf// 000000007FF0: 069A9AFA FF005596
	v_mfma_f32_16x16x16_bf16 v[160:163], v[112:113], v[144:145], v[160:163]// 000000007FF8: D3E100A0 06832170
	v_mul_f32_e32 v72, v48, v72                                // 000000008000: 0A909130
	v_mul_f32_e32 v73, v49, v73                                // 000000008004: 0A929331
	v_mul_f32_e32 v74, v50, v74                                // 000000008008: 0A949532
	v_mfma_f32_16x16x16_bf16 v[164:167], v[114:115], v[144:145], v[164:167]// 00000000800C: D3E100A4 06932172
	v_mul_f32_e32 v75, v51, v75                                // 000000008014: 0A969733
	v_mul_f32_e32 v76, v52, v76                                // 000000008018: 0A989934
	v_mul_f32_e32 v77, v53, v77                                // 00000000801C: 0A9A9B35
	v_mfma_f32_16x16x16_bf16 v[168:171], v[116:117], v[144:145], v[168:171]// 000000008020: D3E100A8 06A32174
	v_cmp_u_f32_e64 s[78:79], v72, v72                         // 000000008028: D048004E 00029148
	v_bfe_u32 v248, v72, 16, 1                                 // 000000008030: D1C800F8 02052148
	v_add3_u32 v248, v72, v248, v251                           // 000000008038: D1FF00F8 07EFF148
	v_cndmask_b32_e64 v28, v248, v250, s[78:79]                // 000000008040: D100001C 013BF5F8
	v_lshrrev_b32_e32 v28, 16, v28                             // 000000008048: 20383890
	v_cmp_u_f32_e64 s[78:79], v73, v73                         // 00000000804C: D048004E 00029349
	v_bfe_u32 v248, v73, 16, 1                                 // 000000008054: D1C800F8 02052149
	v_add3_u32 v248, v73, v248, v251                           // 00000000805C: D1FF00F8 07EFF149
	v_cndmask_b32_e64 v29, v248, v250, s[78:79]                // 000000008064: D100001D 013BF5F8
	v_and_or_b32 v72, v29, v249, v28                           // 00000000806C: D2010048 0473F31D
	v_cmp_u_f32_e64 s[78:79], v74, v74                         // 000000008074: D048004E 0002954A
	v_bfe_u32 v248, v74, 16, 1                                 // 00000000807C: D1C800F8 0205214A
	v_add3_u32 v248, v74, v248, v251                           // 000000008084: D1FF00F8 07EFF14A
	v_cndmask_b32_e64 v28, v248, v250, s[78:79]                // 00000000808C: D100001C 013BF5F8
	v_lshrrev_b32_e32 v28, 16, v28                             // 000000008094: 20383890
	v_cmp_u_f32_e64 s[78:79], v75, v75                         // 000000008098: D048004E 0002974B
	v_bfe_u32 v248, v75, 16, 1                                 // 0000000080A0: D1C800F8 0205214B
	v_add3_u32 v248, v75, v248, v251                           // 0000000080A8: D1FF00F8 07EFF14B
	v_cndmask_b32_e64 v29, v248, v250, s[78:79]                // 0000000080B0: D100001D 013BF5F8
	v_and_or_b32 v73, v29, v249, v28                           // 0000000080B8: D2010049 0473F31D
	v_cmp_u_f32_e64 s[78:79], v76, v76                         // 0000000080C0: D048004E 0002994C
	v_bfe_u32 v248, v76, 16, 1                                 // 0000000080C8: D1C800F8 0205214C
	v_add3_u32 v248, v76, v248, v251                           // 0000000080D0: D1FF00F8 07EFF14C
	v_cndmask_b32_e64 v28, v248, v250, s[78:79]                // 0000000080D8: D100001C 013BF5F8
	v_lshrrev_b32_e32 v28, 16, v28                             // 0000000080E0: 20383890
	v_cmp_u_f32_e64 s[78:79], v77, v77                         // 0000000080E4: D048004E 00029B4D
	v_bfe_u32 v248, v77, 16, 1                                 // 0000000080EC: D1C800F8 0205214D
	v_add3_u32 v248, v77, v248, v251                           // 0000000080F4: D1FF00F8 07EFF14D
	v_cndmask_b32_e64 v29, v248, v250, s[78:79]                // 0000000080FC: D100001D 013BF5F8
	v_and_or_b32 v74, v29, v249, v28                           // 000000008104: D201004A 0473F31D
	v_mfma_f32_16x16x16_bf16 v[172:175], v[118:119], v[144:145], v[172:175]// 00000000810C: D3E100AC 06B32176
	v_mov_b32_dpp v16, v72 quad_perm:[1,0,3,2] row_mask:0xf bank_mask:0xf// 000000008114: 7E2002FA FF00B148
	v_perm_b32 v48, v16, v72, v15                              // 00000000811C: D1ED0030 043E9110
	v_mov_b32_dpp v16, v73 quad_perm:[1,0,3,2] row_mask:0xf bank_mask:0xf// 000000008124: 7E2002FA FF00B149
	v_mfma_f32_16x16x16_bf16 v[176:179], v[120:121], v[144:145], v[176:179]// 00000000812C: D3E100B0 06C32178
	v_perm_b32 v49, v16, v73, v15                              // 000000008134: D1ED0031 043E9310
	v_mov_b32_dpp v16, v74 quad_perm:[1,0,3,2] row_mask:0xf bank_mask:0xf// 00000000813C: 7E2002FA FF00B14A
	v_perm_b32 v50, v16, v74, v15                              // 000000008144: D1ED0032 043E9510
	v_mfma_f32_16x16x16_bf16 v[180:183], v[122:123], v[144:145], v[180:183]// 00000000814C: D3E100B4 06D3217A
	ds_write_b32 v18, v48 offset:17408                         // 000000008154: D81A4400 00003012
	v_mfma_f32_16x16x16_bf16 v[184:187], v[108:109], v[146:147], v[184:187]// 00000000815C: D3E100B8 06E3256C
	v_subrev_f32_dpp v78, v150, v78 quad_perm:[2,2,2,2] row_mask:0xf bank_mask:0xf// 000000008164: 069C9CFA FF00AA96
	v_subrev_f32_dpp v79, v150, v79 quad_perm:[3,3,3,3] row_mask:0xf bank_mask:0xf// 00000000816C: 069E9EFA FF00FF96
	v_subrev_f32_dpp v80, v150, v80 quad_perm:[0,0,0,0] row_mask:0xf bank_mask:0xf// 000000008174: 06A0A0FA FF000096
	v_mfma_f32_16x16x16_bf16 v[188:191], v[110:111], v[146:147], v[188:191]// 00000000817C: D3E100BC 06F3256E
	ds_write_b32 v18, v49 offset:17952                         // 000000008184: D81A4620 00003112
	v_mfma_f32_16x16x16_bf16 v[192:195], v[112:113], v[146:147], v[192:195]// 00000000818C: D3E100C0 07032570
	v_subrev_f32_dpp v81, v150, v81 quad_perm:[1,1,1,1] row_mask:0xf bank_mask:0xf// 000000008194: 06A2A2FA FF005596
	v_subrev_f32_dpp v82, v150, v82 quad_perm:[2,2,2,2] row_mask:0xf bank_mask:0xf// 00000000819C: 06A4A4FA FF00AA96
	v_subrev_f32_dpp v83, v150, v83 quad_perm:[3,3,3,3] row_mask:0xf bank_mask:0xf// 0000000081A4: 06A6A6FA FF00FF96
	v_mfma_f32_16x16x16_bf16 v[196:199], v[114:115], v[146:147], v[196:199]// 0000000081AC: D3E100C4 07132572
	ds_write_b32 v18, v50 offset:19712                         // 0000000081B4: D81A4D00 00003212
	v_mfma_f32_16x16x16_bf16 v[200:203], v[116:117], v[146:147], v[200:203]// 0000000081BC: D3E100C8 07232574
	v_mul_f32_e32 v78, v54, v78                                // 0000000081C4: 0A9C9D36
	v_mul_f32_e32 v79, v55, v79                                // 0000000081C8: 0A9E9F37
	v_mul_f32_e32 v80, v56, v80                                // 0000000081CC: 0AA0A138
	v_mfma_f32_16x16x16_bf16 v[204:207], v[118:119], v[146:147], v[204:207]// 0000000081D0: D3E100CC 07332576
	v_mul_f32_e32 v81, v57, v81                                // 0000000081D8: 0AA2A339
	v_mul_f32_e32 v82, v58, v82                                // 0000000081DC: 0AA4A53A
	v_mul_f32_e32 v83, v59, v83                                // 0000000081E0: 0AA6A73B
	v_mfma_f32_16x16x16_bf16 v[208:211], v[120:121], v[146:147], v[208:211]// 0000000081E4: D3E100D0 07432578
	v_cmp_u_f32_e64 s[78:79], v78, v78                         // 0000000081EC: D048004E 00029D4E
	v_bfe_u32 v248, v78, 16, 1                                 // 0000000081F4: D1C800F8 0205214E
	v_add3_u32 v248, v78, v248, v251                           // 0000000081FC: D1FF00F8 07EFF14E
	v_cndmask_b32_e64 v28, v248, v250, s[78:79]                // 000000008204: D100001C 013BF5F8
	v_lshrrev_b32_e32 v28, 16, v28                             // 00000000820C: 20383890
	v_cmp_u_f32_e64 s[78:79], v79, v79                         // 000000008210: D048004E 00029F4F
	v_bfe_u32 v248, v79, 16, 1                                 // 000000008218: D1C800F8 0205214F
	v_add3_u32 v248, v79, v248, v251                           // 000000008220: D1FF00F8 07EFF14F
	v_cndmask_b32_e64 v29, v248, v250, s[78:79]                // 000000008228: D100001D 013BF5F8
	v_and_or_b32 v75, v29, v249, v28                           // 000000008230: D201004B 0473F31D
	v_cmp_u_f32_e64 s[78:79], v80, v80                         // 000000008238: D048004E 0002A150
	v_bfe_u32 v248, v80, 16, 1                                 // 000000008240: D1C800F8 02052150
	v_add3_u32 v248, v80, v248, v251                           // 000000008248: D1FF00F8 07EFF150
	v_cndmask_b32_e64 v28, v248, v250, s[78:79]                // 000000008250: D100001C 013BF5F8
	v_lshrrev_b32_e32 v28, 16, v28                             // 000000008258: 20383890
	v_cmp_u_f32_e64 s[78:79], v81, v81                         // 00000000825C: D048004E 0002A351
	v_bfe_u32 v248, v81, 16, 1                                 // 000000008264: D1C800F8 02052151
	v_add3_u32 v248, v81, v248, v251                           // 00000000826C: D1FF00F8 07EFF151
	v_cndmask_b32_e64 v29, v248, v250, s[78:79]                // 000000008274: D100001D 013BF5F8
	v_and_or_b32 v76, v29, v249, v28                           // 00000000827C: D201004C 0473F31D
	v_cmp_u_f32_e64 s[78:79], v82, v82                         // 000000008284: D048004E 0002A552
	v_bfe_u32 v248, v82, 16, 1                                 // 00000000828C: D1C800F8 02052152
	v_add3_u32 v248, v82, v248, v251                           // 000000008294: D1FF00F8 07EFF152
	v_cndmask_b32_e64 v28, v248, v250, s[78:79]                // 00000000829C: D100001C 013BF5F8
	v_lshrrev_b32_e32 v28, 16, v28                             // 0000000082A4: 20383890
	v_cmp_u_f32_e64 s[78:79], v83, v83                         // 0000000082A8: D048004E 0002A753
	v_bfe_u32 v248, v83, 16, 1                                 // 0000000082B0: D1C800F8 02052153
	v_add3_u32 v248, v83, v248, v251                           // 0000000082B8: D1FF00F8 07EFF153
	v_cndmask_b32_e64 v29, v248, v250, s[78:79]                // 0000000082C0: D100001D 013BF5F8
	v_and_or_b32 v77, v29, v249, v28                           // 0000000082C8: D201004D 0473F31D
	v_mfma_f32_16x16x16_bf16 v[212:215], v[122:123], v[146:147], v[212:215]// 0000000082D0: D3E100D4 0753257A
	v_mov_b32_dpp v16, v75 quad_perm:[1,0,3,2] row_mask:0xf bank_mask:0xf// 0000000082D8: 7E2002FA FF00B14B
	v_perm_b32 v51, v16, v75, v15                              // 0000000082E0: D1ED0033 043E9710
	v_mov_b32_dpp v16, v76 quad_perm:[1,0,3,2] row_mask:0xf bank_mask:0xf// 0000000082E8: 7E2002FA FF00B14C
	v_mfma_f32_16x16x16_bf16 v[216:219], v[108:109], v[148:149], v[216:219]// 0000000082F0: D3E100D8 0763296C
	v_perm_b32 v52, v16, v76, v15                              // 0000000082F8: D1ED0034 043E9910
	v_mov_b32_dpp v16, v77 quad_perm:[1,0,3,2] row_mask:0xf bank_mask:0xf// 000000008300: 7E2002FA FF00B14D
	v_perm_b32 v53, v16, v77, v15                              // 000000008308: D1ED0035 043E9B10
	v_mfma_f32_16x16x16_bf16 v[220:223], v[110:111], v[148:149], v[220:223]// 000000008310: D3E100DC 0773296E
	ds_write_b32 v18, v51 offset:20256                         // 000000008318: D81A4F20 00003312
	v_mfma_f32_16x16x16_bf16 v[224:227], v[112:113], v[148:149], v[224:227]// 000000008320: D3E100E0 07832970
	v_mfma_f32_16x16x16_bf16 v[228:231], v[114:115], v[148:149], v[228:231]// 000000008328: D3E100E4 07932972
	ds_write_b32 v18, v52 offset:22016                         // 000000008330: D81A5600 00003412
	ds_write_b32 v18, v53 offset:22560                         // 000000008338: D81A5820 00003512
	v_mfma_f32_16x16x16_bf16 v[232:235], v[116:117], v[148:149], v[232:235]// 000000008340: D3E100E8 07A32974
	v_mfma_f32_16x16x16_bf16 v[236:239], v[118:119], v[148:149], v[236:239]// 000000008348: D3E100EC 07B32976
	ds_write_b32 v13, v84 offset:4352                          // 000000008350: D81A1100 0000540D
	ds_write_b32 v13, v85 offset:5408                          // 000000008358: D81A1520 0000550D
	v_mfma_f32_16x16x16_bf16 v[240:243], v[120:121], v[148:149], v[240:243]// 000000008360: D3E100F0 07C32978
	s_nop 0                                                    // 000000008368: BF800000
	s_nop 0                                                    // 00000000836C: BF800000
	s_nop 0                                                    // 000000008370: BF800000
	v_mfma_f32_16x16x16_bf16 v[244:247], v[122:123], v[148:149], v[244:247]// 000000008374: D3E100F4 07D3297A
	ds_write_b32 v13, v86 offset:4480                          // 00000000837C: D81A1180 0000560D
	ds_write_b32 v13, v87 offset:5536                          // 000000008384: D81A15A0 0000570D
	s_barrier                                                  // 00000000838C: BF8A0000
	v_mfma_f32_16x16x16_bf16 a[160:163], a[144:145], v[72:73], a[160:163]// 000000008390: D3E180A0 0E829190
	buffer_atomic_add_f32 v136, v7, s[32:35], 0 offen          // 000000008398: E1341000 80088807
	v_mfma_f32_16x16x16_bf16 a[164:167], a[146:147], v[72:73], a[164:167]// 0000000083A0: D3E180A4 0E929192
	ds_read_b32 v124, v21 offset:50688                         // 0000000083A8: D86CC600 7C000015
	ds_read_b32 v150, v21 offset:50944                         // 0000000083B0: D86CC700 96000015
	v_mfma_f32_16x16x16_bf16 a[168:171], a[148:149], v[72:73], a[168:171]// 0000000083B8: D3E180A8 0EA29194
	s_waitcnt lgkmcnt(6)                                       // 0000000083C0: BF8CC67F
	s_barrier                                                  // 0000000083C4: BF8A0000
	v_mfma_f32_16x16x16_bf16 a[172:175], a[150:151], v[72:73], a[172:175]// 0000000083C8: D3E180AC 0EB29196
	ds_read_b128 v[48:51], v17 offset:17408                    // 0000000083D0: D9FE4400 30000011
	v_mfma_f32_16x16x16_bf16 a[176:179], a[152:153], v[72:73], a[176:179]// 0000000083D8: D3E180B0 0EC29198
	v_mfma_f32_16x16x16_bf16 a[180:183], a[154:155], v[72:73], a[180:183]// 0000000083E0: D3E180B4 0ED2919A
	ds_read_b128 v[52:55], v17 offset:18560                    // 0000000083E8: D9FE4880 34000011
	v_mfma_f32_16x16x16_bf16 a[184:187], a[156:157], v[72:73], a[184:187]// 0000000083F0: D3E180B8 0EE2919C
	buffer_atomic_add_f32 v137, v8, s[32:35], 0 offen          // 0000000083F8: E1341000 80088908
	v_mfma_f32_16x16x16_bf16 a[188:191], a[158:159], v[72:73], a[188:191]// 000000008400: D3E180BC 0EF2919E
	ds_read_b128 v[56:59], v17 offset:19712                    // 000000008408: D9FE4D00 38000011
	v_mfma_f32_16x16x16_bf16 a[192:195], a[144:145], v[74:75], a[192:195]// 000000008410: D3E180C0 0F029590
	v_mfma_f32_16x16x16_bf16 a[196:199], a[146:147], v[74:75], a[196:199]// 000000008418: D3E180C4 0F129592
	ds_read_b128 v[60:63], v17 offset:20864                    // 000000008420: D9FE5180 3C000011
	v_mfma_f32_16x16x16_bf16 a[200:203], a[148:149], v[74:75], a[200:203]// 000000008428: D3E180C8 0F229594
	v_mfma_f32_16x16x16_bf16 a[204:207], a[150:151], v[74:75], a[204:207]// 000000008430: D3E180CC 0F329596
	ds_read_b128 v[64:67], v17 offset:22016                    // 000000008438: D9FE5600 40000011
	v_mfma_f32_16x16x16_bf16 a[208:211], a[152:153], v[74:75], a[208:211]// 000000008440: D3E180D0 0F429598
	buffer_atomic_add_f32 v138, v7, s[32:35], 0 offen offset:128// 000000008448: E1341080 80088A07
	v_mfma_f32_16x16x16_bf16 a[212:215], a[154:155], v[74:75], a[212:215]// 000000008450: D3E180D4 0F52959A
	ds_read_b128 v[68:71], v17 offset:23168                    // 000000008458: D9FE5A80 44000011
	v_mfma_f32_16x16x16_bf16 a[216:219], a[156:157], v[74:75], a[216:219]// 000000008460: D3E180D8 0F62959C
	v_mfma_f32_16x16x16_bf16 a[220:223], a[158:159], v[74:75], a[220:223]// 000000008468: D3E180DC 0F72959E
	ds_write_b32 v13, v88 offset:13056                         // 000000008470: D81A3300 0000580D
	v_mfma_f32_16x16x16_bf16 a[224:227], a[144:145], v[76:77], a[224:227]// 000000008478: D3E180E0 0F829990
	v_mfma_f32_16x16x16_bf16 a[228:231], a[146:147], v[76:77], a[228:231]// 000000008480: D3E180E4 0F929992
	ds_write_b32 v13, v89 offset:14112                         // 000000008488: D81A3720 0000590D
	v_mfma_f32_16x16x16_bf16 a[232:235], a[148:149], v[76:77], a[232:235]// 000000008490: D3E180E8 0FA29994
	buffer_atomic_add_f32 v139, v8, s[32:35], 0 offen offset:128// 000000008498: E1341080 80088B08
	v_mfma_f32_16x16x16_bf16 a[236:239], a[150:151], v[76:77], a[236:239]// 0000000084A0: D3E180EC 0FB29996
	ds_write_b32 v13, v90 offset:13184                         // 0000000084A8: D81A3380 00005A0D
	v_mfma_f32_16x16x16_bf16 a[240:243], a[152:153], v[76:77], a[240:243]// 0000000084B0: D3E180F0 0FC29998
	v_mfma_f32_16x16x16_bf16 a[244:247], a[154:155], v[76:77], a[244:247]// 0000000084B8: D3E180F4 0FD2999A
	ds_write_b32 v13, v91 offset:14240                         // 0000000084C0: D81A37A0 00005B0D
	v_mfma_f32_16x16x16_bf16 a[248:251], a[156:157], v[76:77], a[248:251]// 0000000084C8: D3E180F8 0FE2999C
	v_mfma_f32_16x16x16_bf16 a[252:255], a[158:159], v[76:77], a[252:255]// 0000000084D0: D3E180FC 0FF2999E
	s_waitcnt vmcnt(8) lgkmcnt(4)                              // 0000000084D8: BF8C0478
	s_barrier                                                  // 0000000084DC: BF8A0000
	v_mfma_f32_16x16x16_bf16 v[128:131], v[48:49], a[48:49], 0 // 0000000084E0: D3E10080 12026130
	v_mul_f32_e32 v124, s48, v124                              // 0000000084E8: 0AF8F830
	s_nop 0                                                    // 0000000084EC: BF800000
	v_mfma_f32_16x16x16_bf16 v[128:131], v[50:51], a[52:53], v[128:131]// 0000000084F0: D3E10080 16026932
	ds_read_b128 a[144:147], v10                               // 0000000084F8: DBFE0000 9000000A
	v_mov_b32_e32 v32, 0                                       // 000000008500: 7E400280
	s_mov_b64 exec, s[82:83]                                   // 000000008504: BEFE0152
	buffer_load_dword v32, v1, s[8:11], 0 idxen                // 000000008508: E0502000 80022001
	s_mov_b32 exec_lo, -1                                      // 000000008510: BEFE00C1
	s_mov_b32 exec_hi, -1                                      // 000000008514: BEFF00C1
	v_mfma_f32_16x16x16_bf16 v[128:131], v[52:53], a[56:57], v[128:131]// 000000008518: D3E10080 16027134
	v_mfma_f32_16x16x16_bf16 v[128:131], v[54:55], a[60:61], v[128:131]// 000000008520: D3E10080 16027936
	ds_read_b128 a[148:151], v10 offset:512                    // 000000008528: DBFE0200 9400000A
	v_mov_b32_e32 v33, 0                                       // 000000008530: 7E420280
	s_mov_b64 exec, s[82:83]                                   // 000000008534: BEFE0152
	buffer_load_dword v33, v2, s[8:11], 0 idxen                // 000000008538: E0502000 80022102
	s_mov_b32 exec_lo, -1                                      // 000000008540: BEFE00C1
	s_mov_b32 exec_hi, -1                                      // 000000008544: BEFF00C1
	v_mfma_f32_16x16x16_bf16 v[128:131], v[56:57], a[64:65], v[128:131]// 000000008548: D3E10080 16028138
	v_perm_b32 v84, v37, v36, s63                              // 000000008550: D1ED0054 00FE4925
	v_perm_b32 v85, v37, v36, s64                              // 000000008558: D1ED0055 01024925
	v_mfma_f32_16x16x16_bf16 v[128:131], v[58:59], a[68:69], v[128:131]// 000000008560: D3E10080 1602893A
	ds_read_b128 a[152:155], v10 offset:2176                   // 000000008568: DBFE0880 9800000A
	v_mov_b32_e32 v34, 0                                       // 000000008570: 7E440280
	s_mov_b64 exec, s[82:83]                                   // 000000008574: BEFE0152
	buffer_load_dword v34, v3, s[8:11], 0 idxen                // 000000008578: E0502000 80022203
	s_mov_b32 exec_lo, -1                                      // 000000008580: BEFE00C1
	s_mov_b32 exec_hi, -1                                      // 000000008584: BEFF00C1
	v_mfma_f32_16x16x16_bf16 v[128:131], v[60:61], a[72:73], v[128:131]// 000000008588: D3E10080 1602913C
	v_perm_b32 v86, v39, v38, s63                              // 000000008590: D1ED0056 00FE4D27
	v_perm_b32 v87, v39, v38, s64                              // 000000008598: D1ED0057 01024D27
	v_mfma_f32_16x16x16_bf16 v[128:131], v[62:63], a[76:77], v[128:131]// 0000000085A0: D3E10080 1602993E
	ds_read_b128 a[156:159], v10 offset:2688                   // 0000000085A8: DBFE0A80 9C00000A
	v_mov_b32_e32 v35, 0                                       // 0000000085B0: 7E460280
	s_mov_b64 exec, s[82:83]                                   // 0000000085B4: BEFE0152
	buffer_load_dword v35, v4, s[8:11], 0 idxen                // 0000000085B8: E0502000 80022304
	s_mov_b32 exec_lo, -1                                      // 0000000085C0: BEFE00C1
	s_mov_b32 exec_hi, -1                                      // 0000000085C4: BEFF00C1
	v_mfma_f32_16x16x16_bf16 v[128:131], v[64:65], a[80:81], v[128:131]// 0000000085C8: D3E10080 1602A140
	v_perm_b32 v88, v45, v44, s63                              // 0000000085D0: D1ED0058 00FE592D
	v_perm_b32 v89, v45, v44, s64                              // 0000000085D8: D1ED0059 0102592D
	v_mfma_f32_16x16x16_bf16 v[128:131], v[66:67], a[84:85], v[128:131]// 0000000085E0: D3E10080 1602A942
	ds_read_b128 v[92:95], v10 offset:8704                     // 0000000085E8: D9FE2200 5C00000A
	v_mov_b32_e32 v40, 0                                       // 0000000085F0: 7E500280
	s_mov_b64 exec, s[82:83]                                   // 0000000085F4: BEFE0152
	buffer_load_dword v40, v252, s[20:23], 0 idxen             // 0000000085F8: E0502000 800528FC
	s_mov_b32 exec_lo, -1                                      // 000000008600: BEFE00C1
	s_mov_b32 exec_hi, -1                                      // 000000008604: BEFF00C1
	v_mfma_f32_16x16x16_bf16 v[128:131], v[68:69], a[88:89], v[128:131]// 000000008608: D3E10080 1602B144
	v_perm_b32 v90, v47, v46, s63                              // 000000008610: D1ED005A 00FE5D2F
	v_perm_b32 v91, v47, v46, s64                              // 000000008618: D1ED005B 01025D2F
	v_mfma_f32_16x16x16_bf16 v[128:131], v[70:71], a[92:93], v[128:131]// 000000008620: D3E10080 1602B946
	ds_read_b128 v[96:99], v10 offset:9216                     // 000000008628: D9FE2400 6000000A
	v_mov_b32_e32 v41, 0                                       // 000000008630: 7E520280
	s_mov_b64 exec, s[82:83]                                   // 000000008634: BEFE0152
	buffer_load_dword v41, v253, s[20:23], 0 idxen             // 000000008638: E0502000 800529FD
	s_mov_b32 exec_lo, -1                                      // 000000008640: BEFE00C1
	s_mov_b32 exec_hi, -1                                      // 000000008644: BEFF00C1
	v_mfma_f32_16x16x16_bf16 v[132:135], v[48:49], a[50:51], 0 // 000000008648: D3E10084 12026530
	v_mov_b32_dpp v127, v124 quad_perm:[3,3,3,3] row_mask:0xf bank_mask:0xf// 000000008650: 7EFE02FA FF00FF7C
	v_mov_b32_dpp v126, v124 quad_perm:[2,2,2,2] row_mask:0xf bank_mask:0xf// 000000008658: 7EFC02FA FF00AA7C
	v_mfma_f32_16x16x16_bf16 v[132:135], v[50:51], a[54:55], v[132:135]// 000000008660: D3E10084 16126D32
	ds_read_b128 v[100:103], v10 offset:10880                  // 000000008668: D9FE2A80 6400000A
	v_mov_b32_e32 v42, 0                                       // 000000008670: 7E540280
	s_mov_b64 exec, s[82:83]                                   // 000000008674: BEFE0152
	buffer_load_dword v42, v254, s[20:23], 0 idxen             // 000000008678: E0502000 80052AFE
	s_mov_b32 exec_lo, -1                                      // 000000008680: BEFE00C1
	s_mov_b32 exec_hi, -1                                      // 000000008684: BEFF00C1
	v_mfma_f32_16x16x16_bf16 v[132:135], v[52:53], a[58:59], v[132:135]// 000000008688: D3E10084 16127534
	v_mov_b32_dpp v125, v124 quad_perm:[1,1,1,1] row_mask:0xf bank_mask:0xf// 000000008690: 7EFA02FA FF00557C
	v_mov_b32_dpp v124, v124 quad_perm:[0,0,0,0] row_mask:0xf bank_mask:0xf// 000000008698: 7EF802FA FF00007C
	s_add_u32 s60, 64, s59                                     // 0000000086A0: 803C3BC0
	v_mfma_f32_16x16x16_bf16 v[132:135], v[54:55], a[62:63], v[132:135]// 0000000086A4: D3E10084 16127D36
	ds_read_b128 v[104:107], v10 offset:11392                  // 0000000086AC: D9FE2C80 6800000A
	v_mov_b32_e32 v43, 0                                       // 0000000086B4: 7E560280
	s_mov_b64 exec, s[82:83]                                   // 0000000086B8: BEFE0152
	buffer_load_dword v43, v255, s[20:23], 0 idxen             // 0000000086BC: E0502000 80052BFF
	s_mov_b32 exec_lo, -1                                      // 0000000086C4: BEFE00C1
	s_mov_b32 exec_hi, -1                                      // 0000000086C8: BEFF00C1
	v_mfma_f32_16x16x16_bf16 v[132:135], v[56:57], a[66:67], v[132:135]// 0000000086CC: D3E10084 16128538
	s_cmp_lt_u32 s60, s58                                      // 0000000086D4: BF0A3A3C
	s_cselect_b32 s68, s68, 0                                  // 0000000086D8: 85448044
	s_cselect_b32 s100, s100, 0                                // 0000000086DC: 85648064
	s_cselect_b32 s69, s69, 0                                  // 0000000086E0: 85458045
	v_mfma_f32_16x16x16_bf16 v[132:135], v[58:59], a[70:71], v[132:135]// 0000000086E4: D3E10084 16128D3A
	buffer_load_dword v9, s[24:27], 0 idxen lds                // 0000000086EC: E0512000 80060009
	v_mfma_f32_16x16x16_bf16 v[132:135], v[60:61], a[74:75], v[132:135]// 0000000086F4: D3E10084 1612953C
	v_add_u32_e32 v1, s68, v1                                  // 0000000086FC: 68020244
	v_add_u32_e32 v2, s68, v2                                  // 000000008700: 68040444
	v_add_u32_e32 v3, s68, v3                                  // 000000008704: 68060644
	;; [unrolled: 1-line block ×3, first 2 shown]
	v_mfma_f32_16x16x16_bf16 v[132:135], v[62:63], a[78:79], v[132:135]// 00000000870C: D3E10084 16129D3E
	v_add_u32_e32 v252, s100, v252                             // 000000008714: 69F9F864
	v_add_u32_e32 v253, s100, v253                             // 000000008718: 69FBFA64
	v_add_u32_e32 v254, s100, v254                             // 00000000871C: 69FDFC64
	v_add_u32_e32 v255, s100, v255                             // 000000008720: 69FFFE64
	v_mfma_f32_16x16x16_bf16 v[132:135], v[64:65], a[82:83], v[132:135]// 000000008724: D3E10084 1612A540
	s_mov_b32 m0, s81                                          // 00000000872C: BEFC0051
	v_add_u32_e32 v9, s69, v9                                  // 000000008730: 68121245
	v_mfma_f32_16x16x16_bf16 v[132:135], v[66:67], a[86:87], v[132:135]// 000000008734: D3E10084 1612AD42
	s_cmp_ge_u32 s59, s73                                      // 00000000873C: BF09493B
	s_cselect_b32 s66, s67, s66                                // 000000008740: 85424243
	v_mfma_f32_16x16x16_bf16 v[132:135], v[68:69], a[90:91], v[132:135]// 000000008744: D3E10084 1612B544
	s_addk_i32 s59, 0x10                                       // 00000000874C: B73B0010
	s_nop 0                                                    // 000000008750: BF800000
	s_cmp_lt_i32 s59, s58                                      // 000000008754: BF043A3B
	v_mfma_f32_16x16x16_bf16 v[132:135], v[70:71], a[94:95], v[132:135]// 000000008758: D3E10084 1612BD46
	s_cbranch_scc0 label_1264                                  // 000000008760: BF840001
	s_branch label_0A77                                        // 000000008764: BF82F81D

0000000000008768 <label_1264>:
	s_nop 0                                                    // 000000008768: BF800000
	s_nop 0                                                    // 00000000876C: BF800000
	s_branch label_1A54                                        // 000000008770: BF8207E3

0000000000008774 <label_1267>:
	s_waitcnt lgkmcnt(0)                                       // 000000008774: BF8CC07F
	s_barrier                                                  // 000000008778: BF8A0000
	v_mfma_f32_16x16x16_bf16 v[48:51], a[144:145], a[0:1], 0   // 00000000877C: D3E10030 1A020190
	v_mul_f32_e32 v128, s47, v128                              // 000000008784: 0B01002F
	v_mul_f32_e32 v129, s47, v129                              // 000000008788: 0B03022F
	v_mfma_f32_16x16x16_bf16 v[48:51], a[146:147], a[2:3], v[48:51]// 00000000878C: D3E10030 1CC20592
	ds_write_b32 v11, v44 offset:8704                          // 000000008794: D81A2200 00002C0B
	ds_write_b32 v11, v45 offset:9760                          // 00000000879C: D81A2620 00002D0B
	v_mfma_f32_16x16x16_bf16 v[48:51], a[148:149], a[4:5], v[48:51]// 0000000087A4: D3E10030 1CC20994
	v_mul_f32_e32 v130, s47, v130                              // 0000000087AC: 0B05042F
	v_mul_f32_e32 v131, s47, v131                              // 0000000087B0: 0B07062F
	v_mfma_f32_16x16x16_bf16 v[48:51], a[150:151], a[6:7], v[48:51]// 0000000087B4: D3E10030 1CC20D96
	ds_write_b32 v11, v46 offset:8832                          // 0000000087BC: D81A2280 00002E0B
	ds_write_b32 v11, v47 offset:9888                          // 0000000087C4: D81A26A0 00002F0B
	v_mfma_f32_16x16x16_bf16 v[48:51], a[152:153], a[8:9], v[48:51]// 0000000087CC: D3E10030 1CC21198
	v_mul_f32_e32 v132, s47, v132                              // 0000000087D4: 0B09082F
	v_mul_f32_e32 v133, s47, v133                              // 0000000087D8: 0B0B0A2F
	v_mfma_f32_16x16x16_bf16 v[48:51], a[154:155], a[10:11], v[48:51]// 0000000087DC: D3E10030 1CC2159A
	ds_write_b64 v20, v[128:129] offset:24320                  // 0000000087E4: D89A5F00 00008014
	v_mfma_f32_16x16x16_bf16 v[48:51], a[156:157], a[12:13], v[48:51]// 0000000087EC: D3E10030 1CC2199C
	v_mul_f32_e32 v134, s47, v134                              // 0000000087F4: 0B0D0C2F
	v_mul_f32_e32 v135, s47, v135                              // 0000000087F8: 0B0F0E2F
	v_mfma_f32_16x16x16_bf16 v[48:51], a[158:159], a[14:15], v[48:51]// 0000000087FC: D3E10030 1CC21D9E
	ds_write_b64 v20, v[130:131] offset:24832                  // 000000008804: D89A6100 00008214
	v_mfma_f32_16x16x16_bf16 v[52:55], a[144:145], a[16:17], 0 // 00000000880C: D3E10034 1A022190
	buffer_atomic_add_f32 v140, v7, s[32:35], 0 offen offset:256// 000000008814: E1341100 80088C07
	v_mfma_f32_16x16x16_bf16 v[52:55], a[146:147], a[18:19], v[52:55]// 00000000881C: D3E10034 1CD22592
	ds_write_b64 v20, v[132:133] offset:25344                  // 000000008824: D89A6300 00008414
	v_mfma_f32_16x16x16_bf16 v[52:55], a[148:149], a[20:21], v[52:55]// 00000000882C: D3E10034 1CD22994
	v_mfma_f32_16x16x16_bf16 v[52:55], a[150:151], a[22:23], v[52:55]// 000000008834: D3E10034 1CD22D96
	ds_write_b64 v20, v[134:135] offset:25856                  // 00000000883C: D89A6500 00008614
	v_mfma_f32_16x16x16_bf16 v[52:55], a[152:153], a[24:25], v[52:55]// 000000008844: D3E10034 1CD23198
	buffer_atomic_add_f32 v141, v8, s[32:35], 0 offen offset:256// 00000000884C: E1341100 80088D08
	v_mfma_f32_16x16x16_bf16 v[52:55], a[154:155], a[26:27], v[52:55]// 000000008854: D3E10034 1CD2359A
	ds_read_b128 v[108:111], v12 offset:13056                  // 00000000885C: D9FE3300 6C00000C
	ds_write_b32 v11, v36                                      // 000000008864: D81A0000 0000240B
	v_mfma_f32_16x16x16_bf16 v[52:55], a[156:157], a[28:29], v[52:55]// 00000000886C: D3E10034 1CD2399C
	v_mfma_f32_16x16x16_bf16 v[52:55], a[158:159], a[30:31], v[52:55]// 000000008874: D3E10034 1CD23D9E
	v_mfma_f32_16x16x16_bf16 v[56:59], a[144:145], a[32:33], 0 // 00000000887C: D3E10038 1A024190
	ds_read_b128 v[112:115], v12 offset:13568                  // 000000008884: D9FE3500 7000000C
	ds_write_b32 v11, v37 offset:1056                          // 00000000888C: D81A0420 0000250B
	v_mfma_f32_16x16x16_bf16 v[56:59], a[146:147], a[34:35], v[56:59]// 000000008894: D3E10038 1CE24592
	buffer_atomic_add_f32 v142, v7, s[32:35], 0 offen offset:384// 00000000889C: E1341180 80088E07
	v_mfma_f32_16x16x16_bf16 v[56:59], a[148:149], a[36:37], v[56:59]// 0000000088A4: D3E10038 1CE24994
	v_mfma_f32_16x16x16_bf16 v[56:59], a[150:151], a[38:39], v[56:59]// 0000000088AC: D3E10038 1CE24D96
	ds_read_b128 v[116:119], v12 offset:15232                  // 0000000088B4: D9FE3B80 7400000C
	ds_write_b32 v11, v38 offset:128                           // 0000000088BC: D81A0080 0000260B
	v_mfma_f32_16x16x16_bf16 v[56:59], a[152:153], a[40:41], v[56:59]// 0000000088C4: D3E10038 1CE25198
	v_mfma_f32_16x16x16_bf16 v[56:59], a[154:155], a[42:43], v[56:59]// 0000000088CC: D3E10038 1CE2559A
	buffer_atomic_add_f32 v143, v8, s[32:35], 0 offen offset:384// 0000000088D4: E1341180 80088F08
	v_mfma_f32_16x16x16_bf16 v[56:59], a[156:157], a[44:45], v[56:59]// 0000000088DC: D3E10038 1CE2599C
	ds_read_b128 v[120:123], v12 offset:15744                  // 0000000088E4: D9FE3D80 7800000C
	ds_write_b32 v11, v39 offset:1184                          // 0000000088EC: D81A04A0 0000270B
	v_mfma_f32_16x16x16_bf16 v[56:59], a[158:159], a[46:47], v[56:59]// 0000000088F4: D3E10038 1CE25D9E
	s_cmp_lt_i32 s74, 12                                       // 0000000088FC: BF048C4A
	s_cbranch_scc0 label_1340                                  // 000000008900: BF840075
	s_mov_b32 s60, 0xffe0fffe                                  // 000000008904: BEBC00FF FFE0FFFE
	s_mov_b32 s61, 0xe000fe00                                  // 00000000890C: BEBD00FF E000FE00
	s_nop 0                                                    // 000000008914: BF800000
	s_add_u32 s62, 0, s46                                      // 000000008918: 803E2E80
	s_cmp_lt_i32 s74, s62                                      // 00000000891C: BF043E4A
	s_cbranch_scc1 label_12FB                                  // 000000008920: BF850028
	s_cmp_eq_i32 s74, s62                                      // 000000008924: BF003E4A
	s_cbranch_scc1 label_12E0                                  // 000000008928: BF85000B
	s_add_u32 s62, 4, s46                                      // 00000000892C: 803E2E84
	s_cmp_lt_i32 s74, s62                                      // 000000008930: BF043E4A
	s_cbranch_scc1 label_131B                                  // 000000008934: BF850043
	s_cmp_eq_i32 s74, s62                                      // 000000008938: BF003E4A
	s_cbranch_scc1 label_1300                                  // 00000000893C: BF850026
	s_add_u32 s62, 8, s46                                      // 000000008940: 803E2E88
	s_cmp_lt_i32 s74, s62                                      // 000000008944: BF043E4A
	s_cbranch_scc1 label_133B                                  // 000000008948: BF85005E
	s_cmp_eq_i32 s74, s62                                      // 00000000894C: BF003E4A
	s_cbranch_scc1 label_1320                                  // 000000008950: BF850041
	s_branch label_1340                                        // 000000008954: BF820060

0000000000008958 <label_12E0>:
	v_cndmask_b32_e64 v48, v48, v151, s[60:61]                 // 000000008958: D1000030 00F32F30
	s_lshl_b32 s60, s60, 1                                     // 000000008960: 8E3C813C
	s_lshl_b32 s61, s61, 1                                     // 000000008964: 8E3D813D
	s_and_b32 s60, 0xfffeffff, s60                             // 000000008968: 863C3CFF FFFEFFFF
	s_and_b32 s61, 0xfffeffff, s61                             // 000000008970: 863D3DFF FFFEFFFF
	v_cndmask_b32_e64 v49, v49, v151, s[60:61]                 // 000000008978: D1000031 00F32F31
	s_lshl_b32 s60, s60, 1                                     // 000000008980: 8E3C813C
	s_lshl_b32 s61, s61, 1                                     // 000000008984: 8E3D813D
	s_and_b32 s60, 0xfffeffff, s60                             // 000000008988: 863C3CFF FFFEFFFF
	s_and_b32 s61, 0xfffeffff, s61                             // 000000008990: 863D3DFF FFFEFFFF
	v_cndmask_b32_e64 v50, v50, v151, s[60:61]                 // 000000008998: D1000032 00F32F32
	s_lshl_b32 s60, s60, 1                                     // 0000000089A0: 8E3C813C
	s_lshl_b32 s61, s61, 1                                     // 0000000089A4: 8E3D813D
	s_and_b32 s60, 0xfffeffff, s60                             // 0000000089A8: 863C3CFF FFFEFFFF
	s_and_b32 s61, 0xfffeffff, s61                             // 0000000089B0: 863D3DFF FFFEFFFF
	v_cndmask_b32_e64 v51, v51, v151, s[60:61]                 // 0000000089B8: D1000033 00F32F33
	s_branch label_131B                                        // 0000000089C0: BF820020

00000000000089c4 <label_12FB>:
	v_mov_b32_e32 v48, v151                                    // 0000000089C4: 7E600397
	v_mov_b32_e32 v49, v151                                    // 0000000089C8: 7E620397
	v_mov_b32_e32 v50, v151                                    // 0000000089CC: 7E640397
	v_mov_b32_e32 v51, v151                                    // 0000000089D0: 7E660397
	s_branch label_131B                                        // 0000000089D4: BF82001B

00000000000089d8 <label_1300>:
	v_cndmask_b32_e64 v52, v52, v151, s[60:61]                 // 0000000089D8: D1000034 00F32F34
	s_lshl_b32 s60, s60, 1                                     // 0000000089E0: 8E3C813C
	s_lshl_b32 s61, s61, 1                                     // 0000000089E4: 8E3D813D
	s_and_b32 s60, 0xfffeffff, s60                             // 0000000089E8: 863C3CFF FFFEFFFF
	s_and_b32 s61, 0xfffeffff, s61                             // 0000000089F0: 863D3DFF FFFEFFFF
	v_cndmask_b32_e64 v53, v53, v151, s[60:61]                 // 0000000089F8: D1000035 00F32F35
	s_lshl_b32 s60, s60, 1                                     // 000000008A00: 8E3C813C
	s_lshl_b32 s61, s61, 1                                     // 000000008A04: 8E3D813D
	s_and_b32 s60, 0xfffeffff, s60                             // 000000008A08: 863C3CFF FFFEFFFF
	s_and_b32 s61, 0xfffeffff, s61                             // 000000008A10: 863D3DFF FFFEFFFF
	v_cndmask_b32_e64 v54, v54, v151, s[60:61]                 // 000000008A18: D1000036 00F32F36
	s_lshl_b32 s60, s60, 1                                     // 000000008A20: 8E3C813C
	s_lshl_b32 s61, s61, 1                                     // 000000008A24: 8E3D813D
	s_and_b32 s60, 0xfffeffff, s60                             // 000000008A28: 863C3CFF FFFEFFFF
	s_and_b32 s61, 0xfffeffff, s61                             // 000000008A30: 863D3DFF FFFEFFFF
	v_cndmask_b32_e64 v55, v55, v151, s[60:61]                 // 000000008A38: D1000037 00F32F37
	s_branch label_133B                                        // 000000008A40: BF820020

0000000000008a44 <label_131B>:
	v_mov_b32_e32 v52, v151                                    // 000000008A44: 7E680397
	v_mov_b32_e32 v53, v151                                    // 000000008A48: 7E6A0397
	v_mov_b32_e32 v54, v151                                    // 000000008A4C: 7E6C0397
	v_mov_b32_e32 v55, v151                                    // 000000008A50: 7E6E0397
	s_branch label_133B                                        // 000000008A54: BF82001B

0000000000008a58 <label_1320>:
	v_cndmask_b32_e64 v56, v56, v151, s[60:61]                 // 000000008A58: D1000038 00F32F38
	s_lshl_b32 s60, s60, 1                                     // 000000008A60: 8E3C813C
	s_lshl_b32 s61, s61, 1                                     // 000000008A64: 8E3D813D
	s_and_b32 s60, 0xfffeffff, s60                             // 000000008A68: 863C3CFF FFFEFFFF
	s_and_b32 s61, 0xfffeffff, s61                             // 000000008A70: 863D3DFF FFFEFFFF
	v_cndmask_b32_e64 v57, v57, v151, s[60:61]                 // 000000008A78: D1000039 00F32F39
	s_lshl_b32 s60, s60, 1                                     // 000000008A80: 8E3C813C
	s_lshl_b32 s61, s61, 1                                     // 000000008A84: 8E3D813D
	s_and_b32 s60, 0xfffeffff, s60                             // 000000008A88: 863C3CFF FFFEFFFF
	s_and_b32 s61, 0xfffeffff, s61                             // 000000008A90: 863D3DFF FFFEFFFF
	v_cndmask_b32_e64 v58, v58, v151, s[60:61]                 // 000000008A98: D100003A 00F32F3A
	s_lshl_b32 s60, s60, 1                                     // 000000008AA0: 8E3C813C
	s_lshl_b32 s61, s61, 1                                     // 000000008AA4: 8E3D813D
	s_and_b32 s60, 0xfffeffff, s60                             // 000000008AA8: 863C3CFF FFFEFFFF
	s_and_b32 s61, 0xfffeffff, s61                             // 000000008AB0: 863D3DFF FFFEFFFF
	v_cndmask_b32_e64 v59, v59, v151, s[60:61]                 // 000000008AB8: D100003B 00F32F3B
	s_branch label_1340                                        // 000000008AC0: BF820005

0000000000008ac4 <label_133B>:
	v_mov_b32_e32 v56, v151                                    // 000000008AC4: 7E700397
	v_mov_b32_e32 v57, v151                                    // 000000008AC8: 7E720397
	v_mov_b32_e32 v58, v151                                    // 000000008ACC: 7E740397
	v_mov_b32_e32 v59, v151                                    // 000000008AD0: 7E760397
	s_branch label_1340                                        // 000000008AD4: BF820000

0000000000008ad8 <label_1340>:
	s_cmp_lt_i32 s84, 0xc0                                     // 000000008AD8: BF04FF54 000000C0
	s_cbranch_scc0 label_1395                                  // 000000008AE0: BF84004D
	s_cmp_le_i32 s84, 64                                       // 000000008AE4: BF05C054
	s_cbranch_scc1 label_134C                                  // 000000008AE8: BF850007
	s_cmp_le_i32 s84, 0x80                                     // 000000008AEC: BF05FF54 00000080
	s_cbranch_scc1 label_1364                                  // 000000008AF4: BF850017
	s_cmp_lt_i32 s84, 0xc0                                     // 000000008AF8: BF04FF54 000000C0
	s_cbranch_scc1 label_137C                                  // 000000008B00: BF85002C
	s_branch label_1395                                        // 000000008B04: BF820044

0000000000008b08 <label_134C>:
	s_mov_b32 s60, 0                                           // 000000008B08: BEBC0080
	v_and_b32_e32 v28, 15, v0                                  // 000000008B0C: 2638008F
	v_add_u32_e64 v28, v28, s60                                // 000000008B10: D134001C 0000791C
	v_mul_i32_i24_e64 v29, s46, 16                             // 000000008B18: D106001D 0001202E
	v_add_u32_e32 v28, v28, v29                                // 000000008B20: 68383B1C
	v_cmp_lt_u32_e64 s[60:61], v28, s84                        // 000000008B24: D0C9003C 0000A91C
	s_nop 1                                                    // 000000008B2C: BF800001
	v_cndmask_b32_e64 v48, v151, v48, s[60:61]                 // 000000008B30: D1000030 00F26197
	v_cndmask_b32_e64 v49, v151, v49, s[60:61]                 // 000000008B38: D1000031 00F26397
	v_cndmask_b32_e64 v50, v151, v50, s[60:61]                 // 000000008B40: D1000032 00F26597
	v_cndmask_b32_e64 v51, v151, v51, s[60:61]                 // 000000008B48: D1000033 00F26797
	s_branch label_1377                                        // 000000008B50: BF820013

0000000000008b54 <label_1364>:
	s_mov_b32 s60, 64                                          // 000000008B54: BEBC00C0
	v_and_b32_e32 v28, 15, v0                                  // 000000008B58: 2638008F
	v_add_u32_e64 v28, v28, s60                                // 000000008B5C: D134001C 0000791C
	v_mul_i32_i24_e64 v29, s46, 16                             // 000000008B64: D106001D 0001202E
	v_add_u32_e32 v28, v28, v29                                // 000000008B6C: 68383B1C
	v_cmp_lt_u32_e64 s[60:61], v28, s84                        // 000000008B70: D0C9003C 0000A91C
	s_nop 1                                                    // 000000008B78: BF800001
	v_cndmask_b32_e64 v52, v151, v52, s[60:61]                 // 000000008B7C: D1000034 00F26997
	v_cndmask_b32_e64 v53, v151, v53, s[60:61]                 // 000000008B84: D1000035 00F26B97
	v_cndmask_b32_e64 v54, v151, v54, s[60:61]                 // 000000008B8C: D1000036 00F26D97
	v_cndmask_b32_e64 v55, v151, v55, s[60:61]                 // 000000008B94: D1000037 00F26F97
	s_branch label_1390                                        // 000000008B9C: BF820019

0000000000008ba0 <label_1377>:
	v_mov_b32_e32 v52, v151                                    // 000000008BA0: 7E680397
	v_mov_b32_e32 v53, v151                                    // 000000008BA4: 7E6A0397
	v_mov_b32_e32 v54, v151                                    // 000000008BA8: 7E6C0397
	v_mov_b32_e32 v55, v151                                    // 000000008BAC: 7E6E0397
	s_branch label_1390                                        // 000000008BB0: BF820014

0000000000008bb4 <label_137C>:
	s_mov_b32 s60, 0x80                                        // 000000008BB4: BEBC00FF 00000080
	v_and_b32_e32 v28, 15, v0                                  // 000000008BBC: 2638008F
	v_add_u32_e64 v28, v28, s60                                // 000000008BC0: D134001C 0000791C
	v_mul_i32_i24_e64 v29, s46, 16                             // 000000008BC8: D106001D 0001202E
	v_add_u32_e32 v28, v28, v29                                // 000000008BD0: 68383B1C
	v_cmp_lt_u32_e64 s[60:61], v28, s84                        // 000000008BD4: D0C9003C 0000A91C
	s_nop 1                                                    // 000000008BDC: BF800001
	v_cndmask_b32_e64 v56, v151, v56, s[60:61]                 // 000000008BE0: D1000038 00F27197
	v_cndmask_b32_e64 v57, v151, v57, s[60:61]                 // 000000008BE8: D1000039 00F27397
	v_cndmask_b32_e64 v58, v151, v58, s[60:61]                 // 000000008BF0: D100003A 00F27597
	v_cndmask_b32_e64 v59, v151, v59, s[60:61]                 // 000000008BF8: D100003B 00F27797
	s_branch label_1395                                        // 000000008C00: BF820005

0000000000008c04 <label_1390>:
	v_mov_b32_e32 v56, v151                                    // 000000008C04: 7E700397
	v_mov_b32_e32 v57, v151                                    // 000000008C08: 7E720397
	v_mov_b32_e32 v58, v151                                    // 000000008C0C: 7E740397
	v_mov_b32_e32 v59, v151                                    // 000000008C10: 7E760397
	s_branch label_1395                                        // 000000008C14: BF820000

0000000000008c18 <label_1395>:
	s_addk_i32 s74, 0x1                                        // 000000008C18: B74A0001
	s_waitcnt lgkmcnt(8)                                       // 000000008C1C: BF8CC87F
	s_barrier                                                  // 000000008C20: BF8A0000
	v_mfma_f32_16x16x16_bf16 v[72:75], v[92:93], a[96:97], 0   // 000000008C24: D3E10048 1202C15C
	v_fma_f32 v48, v48, s57, -v124                             // 000000008C2C: D1CB0030 85F07330
	v_fma_f32 v49, v49, s57, -v125                             // 000000008C34: D1CB0031 85F47331
	v_fma_f32 v50, v50, s57, -v126                             // 000000008C3C: D1CB0032 85F87332
	v_mfma_f32_16x16x16_bf16 v[72:75], v[94:95], a[98:99], v[72:75]// 000000008C44: D3E10048 1522C55E
	ds_read_b128 a[144:147], v12 offset:4352                   // 000000008C4C: DBFE1100 9000000C
	ds_read_b128 a[148:151], v12 offset:4864                   // 000000008C54: DBFE1300 9400000C
	v_mfma_f32_16x16x16_bf16 v[72:75], v[96:97], a[100:101], v[72:75]// 000000008C5C: D3E10048 1522C960
	v_fma_f32 v51, v51, s57, -v127                             // 000000008C64: D1CB0033 85FC7333
	v_fma_f32 v52, v52, s57, -v124                             // 000000008C6C: D1CB0034 85F07334
	v_fma_f32 v53, v53, s57, -v125                             // 000000008C74: D1CB0035 85F47335
	v_mfma_f32_16x16x16_bf16 v[72:75], v[98:99], a[102:103], v[72:75]// 000000008C7C: D3E10048 1522CD62
	v_fma_f32 v54, v54, s57, -v126                             // 000000008C84: D1CB0036 85F87336
	v_fma_f32 v55, v55, s57, -v127                             // 000000008C8C: D1CB0037 85FC7337
	v_fma_f32 v56, v56, s57, -v124                             // 000000008C94: D1CB0038 85F07338
	v_mfma_f32_16x16x16_bf16 v[72:75], v[100:101], a[104:105], v[72:75]// 000000008C9C: D3E10048 1522D164
	v_fma_f32 v57, v57, s57, -v125                             // 000000008CA4: D1CB0039 85F47339
	v_fma_f32 v58, v58, s57, -v126                             // 000000008CAC: D1CB003A 85F8733A
	v_fma_f32 v59, v59, s57, -v127                             // 000000008CB4: D1CB003B 85FC733B
	v_mfma_f32_16x16x16_bf16 v[72:75], v[102:103], a[106:107], v[72:75]// 000000008CBC: D3E10048 1522D566
	ds_read_b128 a[152:155], v12 offset:6528                   // 000000008CC4: DBFE1980 9800000C
	ds_read_b128 a[156:159], v12 offset:7040                   // 000000008CCC: DBFE1B80 9C00000C
	v_mfma_f32_16x16x16_bf16 v[72:75], v[104:105], a[108:109], v[72:75]// 000000008CD4: D3E10048 1522D968
	v_exp_f32_e32 v48, v48                                     // 000000008CDC: 7E604130
	v_mfma_f32_16x16x16_bf16 v[72:75], v[106:107], a[110:111], v[72:75]// 000000008CE0: D3E10048 1522DD6A
	v_exp_f32_e32 v49, v49                                     // 000000008CE8: 7E624131
	v_mfma_f32_16x16x16_bf16 v[76:79], v[92:93], a[112:113], 0 // 000000008CEC: D3E1004C 1202E15C
	v_exp_f32_e32 v50, v50                                     // 000000008CF4: 7E644132
	v_mfma_f32_16x16x16_bf16 v[76:79], v[94:95], a[114:115], v[76:79]// 000000008CF8: D3E1004C 1532E55E
	ds_read_b64 v[136:137], v19 offset:24320                   // 000000008D00: D8EC5F00 88000013
	ds_read_b64 v[138:139], v19 offset:26368                   // 000000008D08: D8EC6700 8A000013
	v_mfma_f32_16x16x16_bf16 v[76:79], v[96:97], a[116:117], v[76:79]// 000000008D10: D3E1004C 1532E960
	v_exp_f32_e32 v51, v51                                     // 000000008D18: 7E664133
	v_mfma_f32_16x16x16_bf16 v[76:79], v[98:99], a[118:119], v[76:79]// 000000008D1C: D3E1004C 1532ED62
	ds_read_b64 v[140:141], v19 offset:28416                   // 000000008D24: D8EC6F00 8C000013
	ds_read_b64 v[142:143], v19 offset:30464                   // 000000008D2C: D8EC7700 8E000013
	v_mfma_f32_16x16x16_bf16 v[76:79], v[100:101], a[120:121], v[76:79]// 000000008D34: D3E1004C 1532F164
	v_exp_f32_e32 v52, v52                                     // 000000008D3C: 7E684134
	v_mfma_f32_16x16x16_bf16 v[76:79], v[102:103], a[122:123], v[76:79]// 000000008D40: D3E1004C 1532F566
	v_exp_f32_e32 v53, v53                                     // 000000008D48: 7E6A4135
	v_mfma_f32_16x16x16_bf16 v[76:79], v[104:105], a[124:125], v[76:79]// 000000008D4C: D3E1004C 1532F968
	v_exp_f32_e32 v54, v54                                     // 000000008D54: 7E6C4136
	v_mfma_f32_16x16x16_bf16 v[76:79], v[106:107], a[126:127], v[76:79]// 000000008D58: D3E1004C 1532FD6A
	v_exp_f32_e32 v55, v55                                     // 000000008D60: 7E6E4137
	v_mfma_f32_16x16x16_bf16 v[80:83], v[92:93], a[128:129], 0 // 000000008D64: D3E10050 1203015C
	v_exp_f32_e32 v56, v56                                     // 000000008D6C: 7E704138
	v_mfma_f32_16x16x16_bf16 v[80:83], v[94:95], a[130:131], v[80:83]// 000000008D70: D3E10050 1543055E
	v_exp_f32_e32 v57, v57                                     // 000000008D78: 7E724139
	v_mfma_f32_16x16x16_bf16 v[80:83], v[96:97], a[132:133], v[80:83]// 000000008D7C: D3E10050 15430960
	v_exp_f32_e32 v58, v58                                     // 000000008D84: 7E74413A
	v_mfma_f32_16x16x16_bf16 v[80:83], v[98:99], a[134:135], v[80:83]// 000000008D88: D3E10050 15430D62
	v_exp_f32_e32 v59, v59                                     // 000000008D90: 7E76413B
	v_mfma_f32_16x16x16_bf16 v[80:83], v[100:101], a[136:137], v[80:83]// 000000008D94: D3E10050 15431164
	v_cmp_u_f32_e64 s[78:79], v48, v48                         // 000000008D9C: D048004E 00026130
	v_bfe_u32 v248, v48, 16, 1                                 // 000000008DA4: D1C800F8 02052130
	v_add3_u32 v248, v48, v248, v251                           // 000000008DAC: D1FF00F8 07EFF130
	v_cndmask_b32_e64 v28, v248, v250, s[78:79]                // 000000008DB4: D100001C 013BF5F8
	v_lshrrev_b32_e32 v28, 16, v28                             // 000000008DBC: 20383890
	v_cmp_u_f32_e64 s[78:79], v49, v49                         // 000000008DC0: D048004E 00026331
	v_bfe_u32 v248, v49, 16, 1                                 // 000000008DC8: D1C800F8 02052131
	v_add3_u32 v248, v49, v248, v251                           // 000000008DD0: D1FF00F8 07EFF131
	v_cndmask_b32_e64 v29, v248, v250, s[78:79]                // 000000008DD8: D100001D 013BF5F8
	v_and_or_b32 v144, v29, v249, v28                          // 000000008DE0: D2010090 0473F31D
	v_cmp_u_f32_e64 s[78:79], v50, v50                         // 000000008DE8: D048004E 00026532
	v_bfe_u32 v248, v50, 16, 1                                 // 000000008DF0: D1C800F8 02052132
	v_add3_u32 v248, v50, v248, v251                           // 000000008DF8: D1FF00F8 07EFF132
	v_cndmask_b32_e64 v28, v248, v250, s[78:79]                // 000000008E00: D100001C 013BF5F8
	v_lshrrev_b32_e32 v28, 16, v28                             // 000000008E08: 20383890
	v_cmp_u_f32_e64 s[78:79], v51, v51                         // 000000008E0C: D048004E 00026733
	v_bfe_u32 v248, v51, 16, 1                                 // 000000008E14: D1C800F8 02052133
	v_add3_u32 v248, v51, v248, v251                           // 000000008E1C: D1FF00F8 07EFF133
	v_cndmask_b32_e64 v29, v248, v250, s[78:79]                // 000000008E24: D100001D 013BF5F8
	v_and_or_b32 v145, v29, v249, v28                          // 000000008E2C: D2010091 0473F31D
	v_cmp_u_f32_e64 s[78:79], v52, v52                         // 000000008E34: D048004E 00026934
	v_bfe_u32 v248, v52, 16, 1                                 // 000000008E3C: D1C800F8 02052134
	v_add3_u32 v248, v52, v248, v251                           // 000000008E44: D1FF00F8 07EFF134
	v_cndmask_b32_e64 v28, v248, v250, s[78:79]                // 000000008E4C: D100001C 013BF5F8
	v_lshrrev_b32_e32 v28, 16, v28                             // 000000008E54: 20383890
	v_cmp_u_f32_e64 s[78:79], v53, v53                         // 000000008E58: D048004E 00026B35
	v_bfe_u32 v248, v53, 16, 1                                 // 000000008E60: D1C800F8 02052135
	v_add3_u32 v248, v53, v248, v251                           // 000000008E68: D1FF00F8 07EFF135
	v_cndmask_b32_e64 v29, v248, v250, s[78:79]                // 000000008E70: D100001D 013BF5F8
	v_and_or_b32 v146, v29, v249, v28                          // 000000008E78: D2010092 0473F31D
	v_mfma_f32_16x16x16_bf16 v[80:83], v[102:103], a[138:139], v[80:83]// 000000008E80: D3E10050 15431566
	v_cmp_u_f32_e64 s[78:79], v54, v54                         // 000000008E88: D048004E 00026D36
	v_bfe_u32 v248, v54, 16, 1                                 // 000000008E90: D1C800F8 02052136
	v_add3_u32 v248, v54, v248, v251                           // 000000008E98: D1FF00F8 07EFF136
	v_cndmask_b32_e64 v28, v248, v250, s[78:79]                // 000000008EA0: D100001C 013BF5F8
	v_lshrrev_b32_e32 v28, 16, v28                             // 000000008EA8: 20383890
	v_cmp_u_f32_e64 s[78:79], v55, v55                         // 000000008EAC: D048004E 00026F37
	v_bfe_u32 v248, v55, 16, 1                                 // 000000008EB4: D1C800F8 02052137
	v_add3_u32 v248, v55, v248, v251                           // 000000008EBC: D1FF00F8 07EFF137
	v_cndmask_b32_e64 v29, v248, v250, s[78:79]                // 000000008EC4: D100001D 013BF5F8
	v_and_or_b32 v147, v29, v249, v28                          // 000000008ECC: D2010093 0473F31D
	v_cmp_u_f32_e64 s[78:79], v56, v56                         // 000000008ED4: D048004E 00027138
	v_bfe_u32 v248, v56, 16, 1                                 // 000000008EDC: D1C800F8 02052138
	v_add3_u32 v248, v56, v248, v251                           // 000000008EE4: D1FF00F8 07EFF138
	v_cndmask_b32_e64 v28, v248, v250, s[78:79]                // 000000008EEC: D100001C 013BF5F8
	v_lshrrev_b32_e32 v28, 16, v28                             // 000000008EF4: 20383890
	v_cmp_u_f32_e64 s[78:79], v57, v57                         // 000000008EF8: D048004E 00027339
	v_bfe_u32 v248, v57, 16, 1                                 // 000000008F00: D1C800F8 02052139
	v_add3_u32 v248, v57, v248, v251                           // 000000008F08: D1FF00F8 07EFF139
	v_cndmask_b32_e64 v29, v248, v250, s[78:79]                // 000000008F10: D100001D 013BF5F8
	v_and_or_b32 v148, v29, v249, v28                          // 000000008F18: D2010094 0473F31D
	v_cmp_u_f32_e64 s[78:79], v58, v58                         // 000000008F20: D048004E 0002753A
	v_bfe_u32 v248, v58, 16, 1                                 // 000000008F28: D1C800F8 0205213A
	v_add3_u32 v248, v58, v248, v251                           // 000000008F30: D1FF00F8 07EFF13A
	v_cndmask_b32_e64 v28, v248, v250, s[78:79]                // 000000008F38: D100001C 013BF5F8
	v_lshrrev_b32_e32 v28, 16, v28                             // 000000008F40: 20383890
	v_cmp_u_f32_e64 s[78:79], v59, v59                         // 000000008F44: D048004E 0002773B
	v_bfe_u32 v248, v59, 16, 1                                 // 000000008F4C: D1C800F8 0205213B
	v_add3_u32 v248, v59, v248, v251                           // 000000008F54: D1FF00F8 07EFF13B
	v_cndmask_b32_e64 v29, v248, v250, s[78:79]                // 000000008F5C: D100001D 013BF5F8
	v_and_or_b32 v149, v29, v249, v28                          // 000000008F64: D2010095 0473F31D
	v_mfma_f32_16x16x16_bf16 v[80:83], v[104:105], a[140:141], v[80:83]// 000000008F6C: D3E10050 15431968
	v_add_u32_e32 v7, s66, v7                                  // 000000008F74: 680E0E42
	v_add_u32_e32 v8, s66, v8                                  // 000000008F78: 68101042
	v_mfma_f32_16x16x16_bf16 v[80:83], v[106:107], a[142:143], v[80:83]// 000000008F7C: D3E10050 15431D6A
	s_waitcnt lgkmcnt(0)                                       // 000000008F84: BF8CC07F
	s_barrier                                                  // 000000008F88: BF8A0000
	v_mfma_f32_16x16x16_bf16 v[152:155], v[108:109], v[144:145], v[152:155]// 000000008F8C: D3E10098 0663216C
	v_subrev_f32_dpp v72, v150, v72 quad_perm:[0,0,0,0] row_mask:0xf bank_mask:0xf// 000000008F94: 069090FA FF000096
	v_subrev_f32_dpp v73, v150, v73 quad_perm:[1,1,1,1] row_mask:0xf bank_mask:0xf// 000000008F9C: 069292FA FF005596
	v_subrev_f32_dpp v74, v150, v74 quad_perm:[2,2,2,2] row_mask:0xf bank_mask:0xf// 000000008FA4: 069494FA FF00AA96
	v_mfma_f32_16x16x16_bf16 v[156:159], v[110:111], v[144:145], v[156:159]// 000000008FAC: D3E1009C 0673216E
	v_subrev_f32_dpp v75, v150, v75 quad_perm:[3,3,3,3] row_mask:0xf bank_mask:0xf// 000000008FB4: 069696FA FF00FF96
	v_subrev_f32_dpp v76, v150, v76 quad_perm:[0,0,0,0] row_mask:0xf bank_mask:0xf// 000000008FBC: 069898FA FF000096
	v_subrev_f32_dpp v77, v150, v77 quad_perm:[1,1,1,1] row_mask:0xf bank_mask:0xf// 000000008FC4: 069A9AFA FF005596
	v_mfma_f32_16x16x16_bf16 v[160:163], v[112:113], v[144:145], v[160:163]// 000000008FCC: D3E100A0 06832170
	v_mul_f32_e32 v72, v48, v72                                // 000000008FD4: 0A909130
	v_mul_f32_e32 v73, v49, v73                                // 000000008FD8: 0A929331
	v_mul_f32_e32 v74, v50, v74                                // 000000008FDC: 0A949532
	v_mfma_f32_16x16x16_bf16 v[164:167], v[114:115], v[144:145], v[164:167]// 000000008FE0: D3E100A4 06932172
	v_mul_f32_e32 v75, v51, v75                                // 000000008FE8: 0A969733
	v_mul_f32_e32 v76, v52, v76                                // 000000008FEC: 0A989934
	v_mul_f32_e32 v77, v53, v77                                // 000000008FF0: 0A9A9B35
	v_mfma_f32_16x16x16_bf16 v[168:171], v[116:117], v[144:145], v[168:171]// 000000008FF4: D3E100A8 06A32174
	v_cmp_u_f32_e64 s[78:79], v72, v72                         // 000000008FFC: D048004E 00029148
	v_bfe_u32 v248, v72, 16, 1                                 // 000000009004: D1C800F8 02052148
	v_add3_u32 v248, v72, v248, v251                           // 00000000900C: D1FF00F8 07EFF148
	v_cndmask_b32_e64 v28, v248, v250, s[78:79]                // 000000009014: D100001C 013BF5F8
	v_lshrrev_b32_e32 v28, 16, v28                             // 00000000901C: 20383890
	v_cmp_u_f32_e64 s[78:79], v73, v73                         // 000000009020: D048004E 00029349
	v_bfe_u32 v248, v73, 16, 1                                 // 000000009028: D1C800F8 02052149
	v_add3_u32 v248, v73, v248, v251                           // 000000009030: D1FF00F8 07EFF149
	v_cndmask_b32_e64 v29, v248, v250, s[78:79]                // 000000009038: D100001D 013BF5F8
	v_and_or_b32 v72, v29, v249, v28                           // 000000009040: D2010048 0473F31D
	v_cmp_u_f32_e64 s[78:79], v74, v74                         // 000000009048: D048004E 0002954A
	v_bfe_u32 v248, v74, 16, 1                                 // 000000009050: D1C800F8 0205214A
	v_add3_u32 v248, v74, v248, v251                           // 000000009058: D1FF00F8 07EFF14A
	v_cndmask_b32_e64 v28, v248, v250, s[78:79]                // 000000009060: D100001C 013BF5F8
	v_lshrrev_b32_e32 v28, 16, v28                             // 000000009068: 20383890
	v_cmp_u_f32_e64 s[78:79], v75, v75                         // 00000000906C: D048004E 0002974B
	v_bfe_u32 v248, v75, 16, 1                                 // 000000009074: D1C800F8 0205214B
	v_add3_u32 v248, v75, v248, v251                           // 00000000907C: D1FF00F8 07EFF14B
	v_cndmask_b32_e64 v29, v248, v250, s[78:79]                // 000000009084: D100001D 013BF5F8
	v_and_or_b32 v73, v29, v249, v28                           // 00000000908C: D2010049 0473F31D
	v_cmp_u_f32_e64 s[78:79], v76, v76                         // 000000009094: D048004E 0002994C
	v_bfe_u32 v248, v76, 16, 1                                 // 00000000909C: D1C800F8 0205214C
	v_add3_u32 v248, v76, v248, v251                           // 0000000090A4: D1FF00F8 07EFF14C
	v_cndmask_b32_e64 v28, v248, v250, s[78:79]                // 0000000090AC: D100001C 013BF5F8
	v_lshrrev_b32_e32 v28, 16, v28                             // 0000000090B4: 20383890
	v_cmp_u_f32_e64 s[78:79], v77, v77                         // 0000000090B8: D048004E 00029B4D
	v_bfe_u32 v248, v77, 16, 1                                 // 0000000090C0: D1C800F8 0205214D
	v_add3_u32 v248, v77, v248, v251                           // 0000000090C8: D1FF00F8 07EFF14D
	v_cndmask_b32_e64 v29, v248, v250, s[78:79]                // 0000000090D0: D100001D 013BF5F8
	v_and_or_b32 v74, v29, v249, v28                           // 0000000090D8: D201004A 0473F31D
	v_mfma_f32_16x16x16_bf16 v[172:175], v[118:119], v[144:145], v[172:175]// 0000000090E0: D3E100AC 06B32176
	v_mov_b32_dpp v16, v72 quad_perm:[1,0,3,2] row_mask:0xf bank_mask:0xf// 0000000090E8: 7E2002FA FF00B148
	v_perm_b32 v48, v16, v72, v15                              // 0000000090F0: D1ED0030 043E9110
	v_mov_b32_dpp v16, v73 quad_perm:[1,0,3,2] row_mask:0xf bank_mask:0xf// 0000000090F8: 7E2002FA FF00B149
	v_mfma_f32_16x16x16_bf16 v[176:179], v[120:121], v[144:145], v[176:179]// 000000009100: D3E100B0 06C32178
	ds_write_b32 v18, v48 offset:17408                         // 000000009108: D81A4400 00003012
	v_mfma_f32_16x16x16_bf16 v[180:183], v[122:123], v[144:145], v[180:183]// 000000009110: D3E100B4 06D3217A
	v_perm_b32 v49, v16, v73, v15                              // 000000009118: D1ED0031 043E9310
	v_mov_b32_dpp v16, v74 quad_perm:[1,0,3,2] row_mask:0xf bank_mask:0xf// 000000009120: 7E2002FA FF00B14A
	v_perm_b32 v50, v16, v74, v15                              // 000000009128: D1ED0032 043E9510
	v_mfma_f32_16x16x16_bf16 v[184:187], v[108:109], v[146:147], v[184:187]// 000000009130: D3E100B8 06E3256C
	ds_write_b32 v18, v49 offset:17952                         // 000000009138: D81A4620 00003112
	v_mfma_f32_16x16x16_bf16 v[188:191], v[110:111], v[146:147], v[188:191]// 000000009140: D3E100BC 06F3256E
	v_subrev_f32_dpp v78, v150, v78 quad_perm:[2,2,2,2] row_mask:0xf bank_mask:0xf// 000000009148: 069C9CFA FF00AA96
	v_subrev_f32_dpp v79, v150, v79 quad_perm:[3,3,3,3] row_mask:0xf bank_mask:0xf// 000000009150: 069E9EFA FF00FF96
	v_subrev_f32_dpp v80, v150, v80 quad_perm:[0,0,0,0] row_mask:0xf bank_mask:0xf// 000000009158: 06A0A0FA FF000096
	v_mfma_f32_16x16x16_bf16 v[192:195], v[112:113], v[146:147], v[192:195]// 000000009160: D3E100C0 07032570
	ds_write_b32 v18, v50 offset:19712                         // 000000009168: D81A4D00 00003212
	v_mfma_f32_16x16x16_bf16 v[196:199], v[114:115], v[146:147], v[196:199]// 000000009170: D3E100C4 07132572
	v_subrev_f32_dpp v81, v150, v81 quad_perm:[1,1,1,1] row_mask:0xf bank_mask:0xf// 000000009178: 06A2A2FA FF005596
	v_subrev_f32_dpp v82, v150, v82 quad_perm:[2,2,2,2] row_mask:0xf bank_mask:0xf// 000000009180: 06A4A4FA FF00AA96
	v_subrev_f32_dpp v83, v150, v83 quad_perm:[3,3,3,3] row_mask:0xf bank_mask:0xf// 000000009188: 06A6A6FA FF00FF96
	v_mfma_f32_16x16x16_bf16 v[200:203], v[116:117], v[146:147], v[200:203]// 000000009190: D3E100C8 07232574
	v_mul_f32_e32 v78, v54, v78                                // 000000009198: 0A9C9D36
	v_mul_f32_e32 v79, v55, v79                                // 00000000919C: 0A9E9F37
	v_mul_f32_e32 v80, v56, v80                                // 0000000091A0: 0AA0A138
	v_mfma_f32_16x16x16_bf16 v[204:207], v[118:119], v[146:147], v[204:207]// 0000000091A4: D3E100CC 07332576
	v_mul_f32_e32 v81, v57, v81                                // 0000000091AC: 0AA2A339
	v_mul_f32_e32 v82, v58, v82                                // 0000000091B0: 0AA4A53A
	v_mul_f32_e32 v83, v59, v83                                // 0000000091B4: 0AA6A73B
	v_mfma_f32_16x16x16_bf16 v[208:211], v[120:121], v[146:147], v[208:211]// 0000000091B8: D3E100D0 07432578
	v_cmp_u_f32_e64 s[78:79], v78, v78                         // 0000000091C0: D048004E 00029D4E
	v_bfe_u32 v248, v78, 16, 1                                 // 0000000091C8: D1C800F8 0205214E
	v_add3_u32 v248, v78, v248, v251                           // 0000000091D0: D1FF00F8 07EFF14E
	v_cndmask_b32_e64 v28, v248, v250, s[78:79]                // 0000000091D8: D100001C 013BF5F8
	v_lshrrev_b32_e32 v28, 16, v28                             // 0000000091E0: 20383890
	v_cmp_u_f32_e64 s[78:79], v79, v79                         // 0000000091E4: D048004E 00029F4F
	v_bfe_u32 v248, v79, 16, 1                                 // 0000000091EC: D1C800F8 0205214F
	v_add3_u32 v248, v79, v248, v251                           // 0000000091F4: D1FF00F8 07EFF14F
	v_cndmask_b32_e64 v29, v248, v250, s[78:79]                // 0000000091FC: D100001D 013BF5F8
	v_and_or_b32 v75, v29, v249, v28                           // 000000009204: D201004B 0473F31D
	v_cmp_u_f32_e64 s[78:79], v80, v80                         // 00000000920C: D048004E 0002A150
	v_bfe_u32 v248, v80, 16, 1                                 // 000000009214: D1C800F8 02052150
	v_add3_u32 v248, v80, v248, v251                           // 00000000921C: D1FF00F8 07EFF150
	v_cndmask_b32_e64 v28, v248, v250, s[78:79]                // 000000009224: D100001C 013BF5F8
	v_lshrrev_b32_e32 v28, 16, v28                             // 00000000922C: 20383890
	v_cmp_u_f32_e64 s[78:79], v81, v81                         // 000000009230: D048004E 0002A351
	v_bfe_u32 v248, v81, 16, 1                                 // 000000009238: D1C800F8 02052151
	v_add3_u32 v248, v81, v248, v251                           // 000000009240: D1FF00F8 07EFF151
	v_cndmask_b32_e64 v29, v248, v250, s[78:79]                // 000000009248: D100001D 013BF5F8
	v_and_or_b32 v76, v29, v249, v28                           // 000000009250: D201004C 0473F31D
	v_cmp_u_f32_e64 s[78:79], v82, v82                         // 000000009258: D048004E 0002A552
	v_bfe_u32 v248, v82, 16, 1                                 // 000000009260: D1C800F8 02052152
	v_add3_u32 v248, v82, v248, v251                           // 000000009268: D1FF00F8 07EFF152
	v_cndmask_b32_e64 v28, v248, v250, s[78:79]                // 000000009270: D100001C 013BF5F8
	v_lshrrev_b32_e32 v28, 16, v28                             // 000000009278: 20383890
	v_cmp_u_f32_e64 s[78:79], v83, v83                         // 00000000927C: D048004E 0002A753
	v_bfe_u32 v248, v83, 16, 1                                 // 000000009284: D1C800F8 02052153
	v_add3_u32 v248, v83, v248, v251                           // 00000000928C: D1FF00F8 07EFF153
	v_cndmask_b32_e64 v29, v248, v250, s[78:79]                // 000000009294: D100001D 013BF5F8
	v_and_or_b32 v77, v29, v249, v28                           // 00000000929C: D201004D 0473F31D
	v_mfma_f32_16x16x16_bf16 v[212:215], v[122:123], v[146:147], v[212:215]// 0000000092A4: D3E100D4 0753257A
	v_mov_b32_dpp v16, v75 quad_perm:[1,0,3,2] row_mask:0xf bank_mask:0xf// 0000000092AC: 7E2002FA FF00B14B
	v_perm_b32 v51, v16, v75, v15                              // 0000000092B4: D1ED0033 043E9710
	v_mov_b32_dpp v16, v76 quad_perm:[1,0,3,2] row_mask:0xf bank_mask:0xf// 0000000092BC: 7E2002FA FF00B14C
	v_mfma_f32_16x16x16_bf16 v[216:219], v[108:109], v[148:149], v[216:219]// 0000000092C4: D3E100D8 0763296C
	ds_write_b32 v18, v51 offset:20256                         // 0000000092CC: D81A4F20 00003312
	v_mfma_f32_16x16x16_bf16 v[220:223], v[110:111], v[148:149], v[220:223]// 0000000092D4: D3E100DC 0773296E
	v_perm_b32 v52, v16, v76, v15                              // 0000000092DC: D1ED0034 043E9910
	v_mov_b32_dpp v16, v77 quad_perm:[1,0,3,2] row_mask:0xf bank_mask:0xf// 0000000092E4: 7E2002FA FF00B14D
	v_perm_b32 v53, v16, v77, v15                              // 0000000092EC: D1ED0035 043E9B10
	v_mfma_f32_16x16x16_bf16 v[224:227], v[112:113], v[148:149], v[224:227]// 0000000092F4: D3E100E0 07832970
	ds_write_b32 v18, v52 offset:22016                         // 0000000092FC: D81A5600 00003412
	ds_write_b32 v18, v53 offset:22560                         // 000000009304: D81A5820 00003512
	v_mfma_f32_16x16x16_bf16 v[228:231], v[114:115], v[148:149], v[228:231]// 00000000930C: D3E100E4 07932972
	v_mfma_f32_16x16x16_bf16 v[232:235], v[116:117], v[148:149], v[232:235]// 000000009314: D3E100E8 07A32974
	ds_write_b32 v13, v84 offset:4352                          // 00000000931C: D81A1100 0000540D
	ds_write_b32 v13, v85 offset:5408                          // 000000009324: D81A1520 0000550D
	v_mfma_f32_16x16x16_bf16 v[236:239], v[118:119], v[148:149], v[236:239]// 00000000932C: D3E100EC 07B32976
	v_mfma_f32_16x16x16_bf16 v[240:243], v[120:121], v[148:149], v[240:243]// 000000009334: D3E100F0 07C32978
	ds_write_b32 v13, v86 offset:4480                          // 00000000933C: D81A1180 0000560D
	ds_write_b32 v13, v87 offset:5536                          // 000000009344: D81A15A0 0000570D
	v_mfma_f32_16x16x16_bf16 v[244:247], v[122:123], v[148:149], v[244:247]// 00000000934C: D3E100F4 07D3297A
	s_nop 0                                                    // 000000009354: BF800000
	s_nop 0                                                    // 000000009358: BF800000
	s_nop 0                                                    // 00000000935C: BF800000
	s_barrier                                                  // 000000009360: BF8A0000
	v_mfma_f32_16x16x16_bf16 a[160:163], a[144:145], v[72:73], a[160:163]// 000000009364: D3E180A0 0E829190
	ds_read_b32 v124, v21 offset:51200                         // 00000000936C: D86CC800 7C000015
	ds_read_b32 v150, v21 offset:51456                         // 000000009374: D86CC900 96000015
	v_mfma_f32_16x16x16_bf16 a[164:167], a[146:147], v[72:73], a[164:167]// 00000000937C: D3E180A4 0E929192
	buffer_atomic_add_f32 v136, v7, s[32:35], 0 offen          // 000000009384: E1341000 80088807
	v_mfma_f32_16x16x16_bf16 a[168:171], a[148:149], v[72:73], a[168:171]// 00000000938C: D3E180A8 0EA29194
	s_waitcnt lgkmcnt(6)                                       // 000000009394: BF8CC67F
	s_barrier                                                  // 000000009398: BF8A0000
	v_mfma_f32_16x16x16_bf16 a[172:175], a[150:151], v[72:73], a[172:175]// 00000000939C: D3E180AC 0EB29196
	v_mfma_f32_16x16x16_bf16 a[176:179], a[152:153], v[72:73], a[176:179]// 0000000093A4: D3E180B0 0EC29198
	ds_read_b128 v[48:51], v17 offset:17408                    // 0000000093AC: D9FE4400 30000011
	v_mfma_f32_16x16x16_bf16 a[180:183], a[154:155], v[72:73], a[180:183]// 0000000093B4: D3E180B4 0ED2919A
	v_mfma_f32_16x16x16_bf16 a[184:187], a[156:157], v[72:73], a[184:187]// 0000000093BC: D3E180B8 0EE2919C
	ds_read_b128 v[52:55], v17 offset:18560                    // 0000000093C4: D9FE4880 34000011
	v_mfma_f32_16x16x16_bf16 a[188:191], a[158:159], v[72:73], a[188:191]// 0000000093CC: D3E180BC 0EF2919E
	buffer_atomic_add_f32 v137, v8, s[32:35], 0 offen          // 0000000093D4: E1341000 80088908
	v_mfma_f32_16x16x16_bf16 a[192:195], a[144:145], v[74:75], a[192:195]// 0000000093DC: D3E180C0 0F029590
	ds_read_b128 v[56:59], v17 offset:19712                    // 0000000093E4: D9FE4D00 38000011
	v_mfma_f32_16x16x16_bf16 a[196:199], a[146:147], v[74:75], a[196:199]// 0000000093EC: D3E180C4 0F129592
	v_mfma_f32_16x16x16_bf16 a[200:203], a[148:149], v[74:75], a[200:203]// 0000000093F4: D3E180C8 0F229594
	ds_read_b128 v[60:63], v17 offset:20864                    // 0000000093FC: D9FE5180 3C000011
	v_mfma_f32_16x16x16_bf16 a[204:207], a[150:151], v[74:75], a[204:207]// 000000009404: D3E180CC 0F329596
	v_mfma_f32_16x16x16_bf16 a[208:211], a[152:153], v[74:75], a[208:211]// 00000000940C: D3E180D0 0F429598
	ds_read_b128 v[64:67], v17 offset:22016                    // 000000009414: D9FE5600 40000011
	v_mfma_f32_16x16x16_bf16 a[212:215], a[154:155], v[74:75], a[212:215]// 00000000941C: D3E180D4 0F52959A
	buffer_atomic_add_f32 v138, v7, s[32:35], 0 offen offset:128// 000000009424: E1341080 80088A07
	v_mfma_f32_16x16x16_bf16 a[216:219], a[156:157], v[74:75], a[216:219]// 00000000942C: D3E180D8 0F62959C
	ds_read_b128 v[68:71], v17 offset:23168                    // 000000009434: D9FE5A80 44000011
	v_mfma_f32_16x16x16_bf16 a[220:223], a[158:159], v[74:75], a[220:223]// 00000000943C: D3E180DC 0F72959E
	v_mfma_f32_16x16x16_bf16 a[224:227], a[144:145], v[76:77], a[224:227]// 000000009444: D3E180E0 0F829990
	ds_write_b32 v13, v88 offset:13056                         // 00000000944C: D81A3300 0000580D
	v_mfma_f32_16x16x16_bf16 a[228:231], a[146:147], v[76:77], a[228:231]// 000000009454: D3E180E4 0F929992
	v_mfma_f32_16x16x16_bf16 a[232:235], a[148:149], v[76:77], a[232:235]// 00000000945C: D3E180E8 0FA29994
	ds_write_b32 v13, v89 offset:14112                         // 000000009464: D81A3720 0000590D
	v_mfma_f32_16x16x16_bf16 a[236:239], a[150:151], v[76:77], a[236:239]// 00000000946C: D3E180EC 0FB29996
	buffer_atomic_add_f32 v139, v8, s[32:35], 0 offen offset:128// 000000009474: E1341080 80088B08
	v_mfma_f32_16x16x16_bf16 a[240:243], a[152:153], v[76:77], a[240:243]// 00000000947C: D3E180F0 0FC29998
	ds_write_b32 v13, v90 offset:13184                         // 000000009484: D81A3380 00005A0D
	v_mfma_f32_16x16x16_bf16 a[244:247], a[154:155], v[76:77], a[244:247]// 00000000948C: D3E180F4 0FD2999A
	v_mfma_f32_16x16x16_bf16 a[248:251], a[156:157], v[76:77], a[248:251]// 000000009494: D3E180F8 0FE2999C
	ds_write_b32 v13, v91 offset:14240                         // 00000000949C: D81A37A0 00005B0D
	v_mfma_f32_16x16x16_bf16 a[252:255], a[158:159], v[76:77], a[252:255]// 0000000094A4: D3E180FC 0FF2999E
	s_waitcnt vmcnt(8) lgkmcnt(4)                              // 0000000094AC: BF8C0478
	s_barrier                                                  // 0000000094B0: BF8A0000
	v_mfma_f32_16x16x16_bf16 v[128:131], v[48:49], a[48:49], 0 // 0000000094B4: D3E10080 12026130
	ds_read_b128 a[144:147], v10                               // 0000000094BC: DBFE0000 9000000A
	v_mov_b32_e32 v36, 0                                       // 0000000094C4: 7E480280
	s_mov_b64 exec, s[82:83]                                   // 0000000094C8: BEFE0152
	buffer_load_dword v36, v1, s[8:11], 0 idxen                // 0000000094CC: E0502000 80022401
	s_mov_b32 exec_lo, -1                                      // 0000000094D4: BEFE00C1
	s_mov_b32 exec_hi, -1                                      // 0000000094D8: BEFF00C1
	v_mfma_f32_16x16x16_bf16 v[128:131], v[50:51], a[52:53], v[128:131]// 0000000094DC: D3E10080 16026932
	v_mul_f32_e32 v124, s48, v124                              // 0000000094E4: 0AF8F830
	s_nop 0                                                    // 0000000094E8: BF800000
	v_mfma_f32_16x16x16_bf16 v[128:131], v[52:53], a[56:57], v[128:131]// 0000000094EC: D3E10080 16027134
	ds_read_b128 a[148:151], v10 offset:512                    // 0000000094F4: DBFE0200 9400000A
	v_mov_b32_e32 v37, 0                                       // 0000000094FC: 7E4A0280
	s_mov_b64 exec, s[82:83]                                   // 000000009500: BEFE0152
	buffer_load_dword v37, v2, s[8:11], 0 idxen                // 000000009504: E0502000 80022502
	s_mov_b32 exec_lo, -1                                      // 00000000950C: BEFE00C1
	s_mov_b32 exec_hi, -1                                      // 000000009510: BEFF00C1
	v_mfma_f32_16x16x16_bf16 v[128:131], v[54:55], a[60:61], v[128:131]// 000000009514: D3E10080 16027936
	v_mfma_f32_16x16x16_bf16 v[128:131], v[56:57], a[64:65], v[128:131]// 00000000951C: D3E10080 16028138
	ds_read_b128 a[152:155], v10 offset:2176                   // 000000009524: DBFE0880 9800000A
	v_mov_b32_e32 v38, 0                                       // 00000000952C: 7E4C0280
	s_mov_b64 exec, s[82:83]                                   // 000000009530: BEFE0152
	buffer_load_dword v38, v3, s[8:11], 0 idxen                // 000000009534: E0502000 80022603
	s_mov_b32 exec_lo, -1                                      // 00000000953C: BEFE00C1
	s_mov_b32 exec_hi, -1                                      // 000000009540: BEFF00C1
	v_mfma_f32_16x16x16_bf16 v[128:131], v[58:59], a[68:69], v[128:131]// 000000009544: D3E10080 1602893A
	v_perm_b32 v84, v33, v32, s63                              // 00000000954C: D1ED0054 00FE4121
	v_perm_b32 v85, v33, v32, s64                              // 000000009554: D1ED0055 01024121
	v_mfma_f32_16x16x16_bf16 v[128:131], v[60:61], a[72:73], v[128:131]// 00000000955C: D3E10080 1602913C
	ds_read_b128 a[156:159], v10 offset:2688                   // 000000009564: DBFE0A80 9C00000A
	v_mov_b32_e32 v39, 0                                       // 00000000956C: 7E4E0280
	s_mov_b64 exec, s[82:83]                                   // 000000009570: BEFE0152
	buffer_load_dword v39, v4, s[8:11], 0 idxen                // 000000009574: E0502000 80022704
	s_mov_b32 exec_lo, -1                                      // 00000000957C: BEFE00C1
	s_mov_b32 exec_hi, -1                                      // 000000009580: BEFF00C1
	v_mfma_f32_16x16x16_bf16 v[128:131], v[62:63], a[76:77], v[128:131]// 000000009584: D3E10080 1602993E
	v_perm_b32 v86, v35, v34, s63                              // 00000000958C: D1ED0056 00FE4523
	v_perm_b32 v87, v35, v34, s64                              // 000000009594: D1ED0057 01024523
	v_mfma_f32_16x16x16_bf16 v[128:131], v[64:65], a[80:81], v[128:131]// 00000000959C: D3E10080 1602A140
	ds_read_b128 v[92:95], v10 offset:8704                     // 0000000095A4: D9FE2200 5C00000A
	v_mov_b32_e32 v44, 0                                       // 0000000095AC: 7E580280
	s_mov_b64 exec, s[82:83]                                   // 0000000095B0: BEFE0152
	buffer_load_dword v44, v252, s[20:23], 0 idxen             // 0000000095B4: E0502000 80052CFC
	s_mov_b32 exec_lo, -1                                      // 0000000095BC: BEFE00C1
	s_mov_b32 exec_hi, -1                                      // 0000000095C0: BEFF00C1
	v_mfma_f32_16x16x16_bf16 v[128:131], v[66:67], a[84:85], v[128:131]// 0000000095C4: D3E10080 1602A942
	v_perm_b32 v88, v41, v40, s63                              // 0000000095CC: D1ED0058 00FE5129
	v_perm_b32 v89, v41, v40, s64                              // 0000000095D4: D1ED0059 01025129
	v_mfma_f32_16x16x16_bf16 v[128:131], v[68:69], a[88:89], v[128:131]// 0000000095DC: D3E10080 1602B144
	ds_read_b128 v[96:99], v10 offset:9216                     // 0000000095E4: D9FE2400 6000000A
	v_mov_b32_e32 v45, 0                                       // 0000000095EC: 7E5A0280
	s_mov_b64 exec, s[82:83]                                   // 0000000095F0: BEFE0152
	buffer_load_dword v45, v253, s[20:23], 0 idxen             // 0000000095F4: E0502000 80052DFD
	s_mov_b32 exec_lo, -1                                      // 0000000095FC: BEFE00C1
	s_mov_b32 exec_hi, -1                                      // 000000009600: BEFF00C1
	v_mfma_f32_16x16x16_bf16 v[128:131], v[70:71], a[92:93], v[128:131]// 000000009604: D3E10080 1602B946
	v_perm_b32 v90, v43, v42, s63                              // 00000000960C: D1ED005A 00FE552B
	v_perm_b32 v91, v43, v42, s64                              // 000000009614: D1ED005B 0102552B
	v_mfma_f32_16x16x16_bf16 v[132:135], v[48:49], a[50:51], 0 // 00000000961C: D3E10084 12026530
	ds_read_b128 v[100:103], v10 offset:10880                  // 000000009624: D9FE2A80 6400000A
	v_mov_b32_e32 v46, 0                                       // 00000000962C: 7E5C0280
	s_mov_b64 exec, s[82:83]                                   // 000000009630: BEFE0152
	buffer_load_dword v46, v254, s[20:23], 0 idxen             // 000000009634: E0502000 80052EFE
	s_mov_b32 exec_lo, -1                                      // 00000000963C: BEFE00C1
	s_mov_b32 exec_hi, -1                                      // 000000009640: BEFF00C1
	v_mfma_f32_16x16x16_bf16 v[132:135], v[50:51], a[54:55], v[132:135]// 000000009644: D3E10084 16126D32
	v_mov_b32_dpp v127, v124 quad_perm:[3,3,3,3] row_mask:0xf bank_mask:0xf// 00000000964C: 7EFE02FA FF00FF7C
	v_mov_b32_dpp v126, v124 quad_perm:[2,2,2,2] row_mask:0xf bank_mask:0xf// 000000009654: 7EFC02FA FF00AA7C
	v_mfma_f32_16x16x16_bf16 v[132:135], v[52:53], a[58:59], v[132:135]// 00000000965C: D3E10084 16127534
	ds_read_b128 v[104:107], v10 offset:11392                  // 000000009664: D9FE2C80 6800000A
	v_mov_b32_e32 v47, 0                                       // 00000000966C: 7E5E0280
	s_mov_b64 exec, s[82:83]                                   // 000000009670: BEFE0152
	buffer_load_dword v47, v255, s[20:23], 0 idxen             // 000000009674: E0502000 80052FFF
	s_mov_b32 exec_lo, -1                                      // 00000000967C: BEFE00C1
	s_mov_b32 exec_hi, -1                                      // 000000009680: BEFF00C1
	v_mfma_f32_16x16x16_bf16 v[132:135], v[54:55], a[62:63], v[132:135]// 000000009684: D3E10084 16127D36
	v_mov_b32_dpp v125, v124 quad_perm:[1,1,1,1] row_mask:0xf bank_mask:0xf// 00000000968C: 7EFA02FA FF00557C
	v_mov_b32_dpp v124, v124 quad_perm:[0,0,0,0] row_mask:0xf bank_mask:0xf// 000000009694: 7EF802FA FF00007C
	s_add_u32 s60, 64, s59                                     // 00000000969C: 803C3BC0
	v_mfma_f32_16x16x16_bf16 v[132:135], v[56:57], a[66:67], v[132:135]// 0000000096A0: D3E10084 16128538
	buffer_load_dword v9, s[24:27], 0 idxen lds                // 0000000096A8: E0512000 80060009
	v_mfma_f32_16x16x16_bf16 v[132:135], v[58:59], a[70:71], v[132:135]// 0000000096B0: D3E10084 16128D3A
	s_cmp_lt_u32 s60, s58                                      // 0000000096B8: BF0A3A3C
	s_cselect_b32 s68, s68, 0                                  // 0000000096BC: 85448044
	s_cselect_b32 s100, s100, 0                                // 0000000096C0: 85648064
	s_cselect_b32 s69, s69, 0                                  // 0000000096C4: 85458045
	v_mfma_f32_16x16x16_bf16 v[132:135], v[60:61], a[74:75], v[132:135]// 0000000096C8: D3E10084 1612953C
	v_add_u32_e32 v1, s68, v1                                  // 0000000096D0: 68020244
	v_add_u32_e32 v2, s68, v2                                  // 0000000096D4: 68040444
	v_add_u32_e32 v3, s68, v3                                  // 0000000096D8: 68060644
	v_add_u32_e32 v4, s68, v4                                  // 0000000096DC: 68080844
	v_mfma_f32_16x16x16_bf16 v[132:135], v[62:63], a[78:79], v[132:135]// 0000000096E0: D3E10084 16129D3E
	v_add_u32_e32 v252, s100, v252                             // 0000000096E8: 69F9F864
	v_add_u32_e32 v253, s100, v253                             // 0000000096EC: 69FBFA64
	v_add_u32_e32 v254, s100, v254                             // 0000000096F0: 69FDFC64
	v_add_u32_e32 v255, s100, v255                             // 0000000096F4: 69FFFE64
	v_mfma_f32_16x16x16_bf16 v[132:135], v[64:65], a[82:83], v[132:135]// 0000000096F8: D3E10084 1612A540
	s_mov_b32 m0, s80                                          // 000000009700: BEFC0050
	v_add_u32_e32 v9, s69, v9                                  // 000000009704: 68121245
	v_mfma_f32_16x16x16_bf16 v[132:135], v[66:67], a[86:87], v[132:135]// 000000009708: D3E10084 1612AD42
	s_cmp_ge_u32 s59, s73                                      // 000000009710: BF09493B
	s_cselect_b32 s66, s67, s66                                // 000000009714: 85424243
	v_mfma_f32_16x16x16_bf16 v[132:135], v[68:69], a[90:91], v[132:135]// 000000009718: D3E10084 1612B544
	s_addk_i32 s59, 0x10                                       // 000000009720: B73B0010
	s_nop 0                                                    // 000000009724: BF800000
	s_cmp_lt_i32 s59, s58                                      // 000000009728: BF043A3B
	v_mfma_f32_16x16x16_bf16 v[132:135], v[70:71], a[94:95], v[132:135]// 00000000972C: D3E10084 1612BD46
	s_cbranch_scc0 label_1264                                  // 000000009734: BF84FC0C
	s_waitcnt lgkmcnt(0)                                       // 000000009738: BF8CC07F
	s_barrier                                                  // 00000000973C: BF8A0000
	v_mfma_f32_16x16x16_bf16 v[48:51], a[144:145], a[0:1], 0   // 000000009740: D3E10030 1A020190
	v_mul_f32_e32 v128, s47, v128                              // 000000009748: 0B01002F
	v_mul_f32_e32 v129, s47, v129                              // 00000000974C: 0B03022F
	v_mfma_f32_16x16x16_bf16 v[48:51], a[146:147], a[2:3], v[48:51]// 000000009750: D3E10030 1CC20592
	ds_write_b32 v11, v40 offset:8704                          // 000000009758: D81A2200 0000280B
	ds_write_b32 v11, v41 offset:9760                          // 000000009760: D81A2620 0000290B
	v_mfma_f32_16x16x16_bf16 v[48:51], a[148:149], a[4:5], v[48:51]// 000000009768: D3E10030 1CC20994
	v_mul_f32_e32 v130, s47, v130                              // 000000009770: 0B05042F
	v_mul_f32_e32 v131, s47, v131                              // 000000009774: 0B07062F
	v_mfma_f32_16x16x16_bf16 v[48:51], a[150:151], a[6:7], v[48:51]// 000000009778: D3E10030 1CC20D96
	ds_write_b32 v11, v42 offset:8832                          // 000000009780: D81A2280 00002A0B
	ds_write_b32 v11, v43 offset:9888                          // 000000009788: D81A26A0 00002B0B
	v_mfma_f32_16x16x16_bf16 v[48:51], a[152:153], a[8:9], v[48:51]// 000000009790: D3E10030 1CC21198
	v_mul_f32_e32 v132, s47, v132                              // 000000009798: 0B09082F
	v_mul_f32_e32 v133, s47, v133                              // 00000000979C: 0B0B0A2F
	v_mfma_f32_16x16x16_bf16 v[48:51], a[154:155], a[10:11], v[48:51]// 0000000097A0: D3E10030 1CC2159A
	ds_write_b64 v20, v[128:129] offset:24320                  // 0000000097A8: D89A5F00 00008014
	v_mfma_f32_16x16x16_bf16 v[48:51], a[156:157], a[12:13], v[48:51]// 0000000097B0: D3E10030 1CC2199C
	v_mul_f32_e32 v134, s47, v134                              // 0000000097B8: 0B0D0C2F
	v_mul_f32_e32 v135, s47, v135                              // 0000000097BC: 0B0F0E2F
	v_mfma_f32_16x16x16_bf16 v[48:51], a[158:159], a[14:15], v[48:51]// 0000000097C0: D3E10030 1CC21D9E
	ds_write_b64 v20, v[130:131] offset:24832                  // 0000000097C8: D89A6100 00008214
	v_mfma_f32_16x16x16_bf16 v[52:55], a[144:145], a[16:17], 0 // 0000000097D0: D3E10034 1A022190
	buffer_atomic_add_f32 v140, v7, s[32:35], 0 offen offset:256// 0000000097D8: E1341100 80088C07
	v_mfma_f32_16x16x16_bf16 v[52:55], a[146:147], a[18:19], v[52:55]// 0000000097E0: D3E10034 1CD22592
	ds_write_b64 v20, v[132:133] offset:25344                  // 0000000097E8: D89A6300 00008414
	v_mfma_f32_16x16x16_bf16 v[52:55], a[148:149], a[20:21], v[52:55]// 0000000097F0: D3E10034 1CD22994
	v_mfma_f32_16x16x16_bf16 v[52:55], a[150:151], a[22:23], v[52:55]// 0000000097F8: D3E10034 1CD22D96
	ds_write_b64 v20, v[134:135] offset:25856                  // 000000009800: D89A6500 00008614
	v_mfma_f32_16x16x16_bf16 v[52:55], a[152:153], a[24:25], v[52:55]// 000000009808: D3E10034 1CD23198
	buffer_atomic_add_f32 v141, v8, s[32:35], 0 offen offset:256// 000000009810: E1341100 80088D08
	v_mfma_f32_16x16x16_bf16 v[52:55], a[154:155], a[26:27], v[52:55]// 000000009818: D3E10034 1CD2359A
	ds_read_b128 v[108:111], v12 offset:13056                  // 000000009820: D9FE3300 6C00000C
	ds_write_b32 v11, v32                                      // 000000009828: D81A0000 0000200B
	v_mfma_f32_16x16x16_bf16 v[52:55], a[156:157], a[28:29], v[52:55]// 000000009830: D3E10034 1CD2399C
	v_mfma_f32_16x16x16_bf16 v[52:55], a[158:159], a[30:31], v[52:55]// 000000009838: D3E10034 1CD23D9E
	v_mfma_f32_16x16x16_bf16 v[56:59], a[144:145], a[32:33], 0 // 000000009840: D3E10038 1A024190
	ds_read_b128 v[112:115], v12 offset:13568                  // 000000009848: D9FE3500 7000000C
	ds_write_b32 v11, v33 offset:1056                          // 000000009850: D81A0420 0000210B
	v_mfma_f32_16x16x16_bf16 v[56:59], a[146:147], a[34:35], v[56:59]// 000000009858: D3E10038 1CE24592
	buffer_atomic_add_f32 v142, v7, s[32:35], 0 offen offset:384// 000000009860: E1341180 80088E07
	v_mfma_f32_16x16x16_bf16 v[56:59], a[148:149], a[36:37], v[56:59]// 000000009868: D3E10038 1CE24994
	v_mfma_f32_16x16x16_bf16 v[56:59], a[150:151], a[38:39], v[56:59]// 000000009870: D3E10038 1CE24D96
	ds_read_b128 v[116:119], v12 offset:15232                  // 000000009878: D9FE3B80 7400000C
	ds_write_b32 v11, v34 offset:128                           // 000000009880: D81A0080 0000220B
	v_mfma_f32_16x16x16_bf16 v[56:59], a[152:153], a[40:41], v[56:59]// 000000009888: D3E10038 1CE25198
	v_mfma_f32_16x16x16_bf16 v[56:59], a[154:155], a[42:43], v[56:59]// 000000009890: D3E10038 1CE2559A
	buffer_atomic_add_f32 v143, v8, s[32:35], 0 offen offset:384// 000000009898: E1341180 80088F08
	v_mfma_f32_16x16x16_bf16 v[56:59], a[156:157], a[44:45], v[56:59]// 0000000098A0: D3E10038 1CE2599C
	ds_read_b128 v[120:123], v12 offset:15744                  // 0000000098A8: D9FE3D80 7800000C
	ds_write_b32 v11, v35 offset:1184                          // 0000000098B0: D81A04A0 0000230B
	v_mfma_f32_16x16x16_bf16 v[56:59], a[158:159], a[46:47], v[56:59]// 0000000098B8: D3E10038 1CE25D9E
	s_cmp_lt_i32 s74, 12                                       // 0000000098C0: BF048C4A
	s_cbranch_scc0 label_1736                                  // 0000000098C4: BF840075
	s_mov_b32 s60, 0xffe0fffe                                  // 0000000098C8: BEBC00FF FFE0FFFE
	s_mov_b32 s61, 0xe000fe00                                  // 0000000098D0: BEBD00FF E000FE00
	s_nop 0                                                    // 0000000098D8: BF800000
	s_add_u32 s62, 0, s46                                      // 0000000098DC: 803E2E80
	s_cmp_lt_i32 s74, s62                                      // 0000000098E0: BF043E4A
	s_cbranch_scc1 label_16F1                                  // 0000000098E4: BF850028
	s_cmp_eq_i32 s74, s62                                      // 0000000098E8: BF003E4A
	s_cbranch_scc1 label_16D6                                  // 0000000098EC: BF85000B
	s_add_u32 s62, 4, s46                                      // 0000000098F0: 803E2E84
	s_cmp_lt_i32 s74, s62                                      // 0000000098F4: BF043E4A
	s_cbranch_scc1 label_1711                                  // 0000000098F8: BF850043
	s_cmp_eq_i32 s74, s62                                      // 0000000098FC: BF003E4A
	s_cbranch_scc1 label_16F6                                  // 000000009900: BF850026
	s_add_u32 s62, 8, s46                                      // 000000009904: 803E2E88
	s_cmp_lt_i32 s74, s62                                      // 000000009908: BF043E4A
	s_cbranch_scc1 label_1731                                  // 00000000990C: BF85005E
	s_cmp_eq_i32 s74, s62                                      // 000000009910: BF003E4A
	s_cbranch_scc1 label_1716                                  // 000000009914: BF850041
	s_branch label_1736                                        // 000000009918: BF820060

000000000000991c <label_16D6>:
	v_cndmask_b32_e64 v48, v48, v151, s[60:61]                 // 00000000991C: D1000030 00F32F30
	s_lshl_b32 s60, s60, 1                                     // 000000009924: 8E3C813C
	s_lshl_b32 s61, s61, 1                                     // 000000009928: 8E3D813D
	s_and_b32 s60, 0xfffeffff, s60                             // 00000000992C: 863C3CFF FFFEFFFF
	s_and_b32 s61, 0xfffeffff, s61                             // 000000009934: 863D3DFF FFFEFFFF
	v_cndmask_b32_e64 v49, v49, v151, s[60:61]                 // 00000000993C: D1000031 00F32F31
	s_lshl_b32 s60, s60, 1                                     // 000000009944: 8E3C813C
	s_lshl_b32 s61, s61, 1                                     // 000000009948: 8E3D813D
	s_and_b32 s60, 0xfffeffff, s60                             // 00000000994C: 863C3CFF FFFEFFFF
	s_and_b32 s61, 0xfffeffff, s61                             // 000000009954: 863D3DFF FFFEFFFF
	v_cndmask_b32_e64 v50, v50, v151, s[60:61]                 // 00000000995C: D1000032 00F32F32
	s_lshl_b32 s60, s60, 1                                     // 000000009964: 8E3C813C
	s_lshl_b32 s61, s61, 1                                     // 000000009968: 8E3D813D
	s_and_b32 s60, 0xfffeffff, s60                             // 00000000996C: 863C3CFF FFFEFFFF
	s_and_b32 s61, 0xfffeffff, s61                             // 000000009974: 863D3DFF FFFEFFFF
	v_cndmask_b32_e64 v51, v51, v151, s[60:61]                 // 00000000997C: D1000033 00F32F33
	s_branch label_1711                                        // 000000009984: BF820020

0000000000009988 <label_16F1>:
	v_mov_b32_e32 v48, v151                                    // 000000009988: 7E600397
	v_mov_b32_e32 v49, v151                                    // 00000000998C: 7E620397
	v_mov_b32_e32 v50, v151                                    // 000000009990: 7E640397
	v_mov_b32_e32 v51, v151                                    // 000000009994: 7E660397
	s_branch label_1711                                        // 000000009998: BF82001B

000000000000999c <label_16F6>:
	v_cndmask_b32_e64 v52, v52, v151, s[60:61]                 // 00000000999C: D1000034 00F32F34
	s_lshl_b32 s60, s60, 1                                     // 0000000099A4: 8E3C813C
	s_lshl_b32 s61, s61, 1                                     // 0000000099A8: 8E3D813D
	s_and_b32 s60, 0xfffeffff, s60                             // 0000000099AC: 863C3CFF FFFEFFFF
	s_and_b32 s61, 0xfffeffff, s61                             // 0000000099B4: 863D3DFF FFFEFFFF
	v_cndmask_b32_e64 v53, v53, v151, s[60:61]                 // 0000000099BC: D1000035 00F32F35
	s_lshl_b32 s60, s60, 1                                     // 0000000099C4: 8E3C813C
	s_lshl_b32 s61, s61, 1                                     // 0000000099C8: 8E3D813D
	s_and_b32 s60, 0xfffeffff, s60                             // 0000000099CC: 863C3CFF FFFEFFFF
	s_and_b32 s61, 0xfffeffff, s61                             // 0000000099D4: 863D3DFF FFFEFFFF
	v_cndmask_b32_e64 v54, v54, v151, s[60:61]                 // 0000000099DC: D1000036 00F32F36
	s_lshl_b32 s60, s60, 1                                     // 0000000099E4: 8E3C813C
	s_lshl_b32 s61, s61, 1                                     // 0000000099E8: 8E3D813D
	s_and_b32 s60, 0xfffeffff, s60                             // 0000000099EC: 863C3CFF FFFEFFFF
	s_and_b32 s61, 0xfffeffff, s61                             // 0000000099F4: 863D3DFF FFFEFFFF
	v_cndmask_b32_e64 v55, v55, v151, s[60:61]                 // 0000000099FC: D1000037 00F32F37
	s_branch label_1731                                        // 000000009A04: BF820020

0000000000009a08 <label_1711>:
	v_mov_b32_e32 v52, v151                                    // 000000009A08: 7E680397
	v_mov_b32_e32 v53, v151                                    // 000000009A0C: 7E6A0397
	v_mov_b32_e32 v54, v151                                    // 000000009A10: 7E6C0397
	v_mov_b32_e32 v55, v151                                    // 000000009A14: 7E6E0397
	s_branch label_1731                                        // 000000009A18: BF82001B

0000000000009a1c <label_1716>:
	v_cndmask_b32_e64 v56, v56, v151, s[60:61]                 // 000000009A1C: D1000038 00F32F38
	s_lshl_b32 s60, s60, 1                                     // 000000009A24: 8E3C813C
	s_lshl_b32 s61, s61, 1                                     // 000000009A28: 8E3D813D
	s_and_b32 s60, 0xfffeffff, s60                             // 000000009A2C: 863C3CFF FFFEFFFF
	s_and_b32 s61, 0xfffeffff, s61                             // 000000009A34: 863D3DFF FFFEFFFF
	v_cndmask_b32_e64 v57, v57, v151, s[60:61]                 // 000000009A3C: D1000039 00F32F39
	s_lshl_b32 s60, s60, 1                                     // 000000009A44: 8E3C813C
	s_lshl_b32 s61, s61, 1                                     // 000000009A48: 8E3D813D
	s_and_b32 s60, 0xfffeffff, s60                             // 000000009A4C: 863C3CFF FFFEFFFF
	s_and_b32 s61, 0xfffeffff, s61                             // 000000009A54: 863D3DFF FFFEFFFF
	v_cndmask_b32_e64 v58, v58, v151, s[60:61]                 // 000000009A5C: D100003A 00F32F3A
	s_lshl_b32 s60, s60, 1                                     // 000000009A64: 8E3C813C
	s_lshl_b32 s61, s61, 1                                     // 000000009A68: 8E3D813D
	s_and_b32 s60, 0xfffeffff, s60                             // 000000009A6C: 863C3CFF FFFEFFFF
	s_and_b32 s61, 0xfffeffff, s61                             // 000000009A74: 863D3DFF FFFEFFFF
	v_cndmask_b32_e64 v59, v59, v151, s[60:61]                 // 000000009A7C: D100003B 00F32F3B
	s_branch label_1736                                        // 000000009A84: BF820005

0000000000009a88 <label_1731>:
	v_mov_b32_e32 v56, v151                                    // 000000009A88: 7E700397
	v_mov_b32_e32 v57, v151                                    // 000000009A8C: 7E720397
	v_mov_b32_e32 v58, v151                                    // 000000009A90: 7E740397
	v_mov_b32_e32 v59, v151                                    // 000000009A94: 7E760397
	s_branch label_1736                                        // 000000009A98: BF820000

0000000000009a9c <label_1736>:
	s_cmp_lt_i32 s84, 0xc0                                     // 000000009A9C: BF04FF54 000000C0
	s_cbranch_scc0 label_178B                                  // 000000009AA4: BF84004D
	s_cmp_le_i32 s84, 64                                       // 000000009AA8: BF05C054
	s_cbranch_scc1 label_1742                                  // 000000009AAC: BF850007
	s_cmp_le_i32 s84, 0x80                                     // 000000009AB0: BF05FF54 00000080
	s_cbranch_scc1 label_175A                                  // 000000009AB8: BF850017
	s_cmp_lt_i32 s84, 0xc0                                     // 000000009ABC: BF04FF54 000000C0
	s_cbranch_scc1 label_1772                                  // 000000009AC4: BF85002C
	s_branch label_178B                                        // 000000009AC8: BF820044

0000000000009acc <label_1742>:
	s_mov_b32 s60, 0                                           // 000000009ACC: BEBC0080
	v_and_b32_e32 v28, 15, v0                                  // 000000009AD0: 2638008F
	v_add_u32_e64 v28, v28, s60                                // 000000009AD4: D134001C 0000791C
	v_mul_i32_i24_e64 v29, s46, 16                             // 000000009ADC: D106001D 0001202E
	v_add_u32_e32 v28, v28, v29                                // 000000009AE4: 68383B1C
	v_cmp_lt_u32_e64 s[60:61], v28, s84                        // 000000009AE8: D0C9003C 0000A91C
	s_nop 1                                                    // 000000009AF0: BF800001
	v_cndmask_b32_e64 v48, v151, v48, s[60:61]                 // 000000009AF4: D1000030 00F26197
	v_cndmask_b32_e64 v49, v151, v49, s[60:61]                 // 000000009AFC: D1000031 00F26397
	v_cndmask_b32_e64 v50, v151, v50, s[60:61]                 // 000000009B04: D1000032 00F26597
	v_cndmask_b32_e64 v51, v151, v51, s[60:61]                 // 000000009B0C: D1000033 00F26797
	s_branch label_176D                                        // 000000009B14: BF820013

0000000000009b18 <label_175A>:
	s_mov_b32 s60, 64                                          // 000000009B18: BEBC00C0
	v_and_b32_e32 v28, 15, v0                                  // 000000009B1C: 2638008F
	v_add_u32_e64 v28, v28, s60                                // 000000009B20: D134001C 0000791C
	v_mul_i32_i24_e64 v29, s46, 16                             // 000000009B28: D106001D 0001202E
	v_add_u32_e32 v28, v28, v29                                // 000000009B30: 68383B1C
	v_cmp_lt_u32_e64 s[60:61], v28, s84                        // 000000009B34: D0C9003C 0000A91C
	s_nop 1                                                    // 000000009B3C: BF800001
	v_cndmask_b32_e64 v52, v151, v52, s[60:61]                 // 000000009B40: D1000034 00F26997
	v_cndmask_b32_e64 v53, v151, v53, s[60:61]                 // 000000009B48: D1000035 00F26B97
	v_cndmask_b32_e64 v54, v151, v54, s[60:61]                 // 000000009B50: D1000036 00F26D97
	v_cndmask_b32_e64 v55, v151, v55, s[60:61]                 // 000000009B58: D1000037 00F26F97
	s_branch label_1786                                        // 000000009B60: BF820019

0000000000009b64 <label_176D>:
	v_mov_b32_e32 v52, v151                                    // 000000009B64: 7E680397
	v_mov_b32_e32 v53, v151                                    // 000000009B68: 7E6A0397
	v_mov_b32_e32 v54, v151                                    // 000000009B6C: 7E6C0397
	v_mov_b32_e32 v55, v151                                    // 000000009B70: 7E6E0397
	s_branch label_1786                                        // 000000009B74: BF820014

0000000000009b78 <label_1772>:
	s_mov_b32 s60, 0x80                                        // 000000009B78: BEBC00FF 00000080
	v_and_b32_e32 v28, 15, v0                                  // 000000009B80: 2638008F
	v_add_u32_e64 v28, v28, s60                                // 000000009B84: D134001C 0000791C
	v_mul_i32_i24_e64 v29, s46, 16                             // 000000009B8C: D106001D 0001202E
	v_add_u32_e32 v28, v28, v29                                // 000000009B94: 68383B1C
	v_cmp_lt_u32_e64 s[60:61], v28, s84                        // 000000009B98: D0C9003C 0000A91C
	s_nop 1                                                    // 000000009BA0: BF800001
	v_cndmask_b32_e64 v56, v151, v56, s[60:61]                 // 000000009BA4: D1000038 00F27197
	v_cndmask_b32_e64 v57, v151, v57, s[60:61]                 // 000000009BAC: D1000039 00F27397
	v_cndmask_b32_e64 v58, v151, v58, s[60:61]                 // 000000009BB4: D100003A 00F27597
	v_cndmask_b32_e64 v59, v151, v59, s[60:61]                 // 000000009BBC: D100003B 00F27797
	s_branch label_178B                                        // 000000009BC4: BF820005

0000000000009bc8 <label_1786>:
	v_mov_b32_e32 v56, v151                                    // 000000009BC8: 7E700397
	v_mov_b32_e32 v57, v151                                    // 000000009BCC: 7E720397
	v_mov_b32_e32 v58, v151                                    // 000000009BD0: 7E740397
	v_mov_b32_e32 v59, v151                                    // 000000009BD4: 7E760397
	s_branch label_178B                                        // 000000009BD8: BF820000

0000000000009bdc <label_178B>:
	s_addk_i32 s74, 0x1                                        // 000000009BDC: B74A0001
	s_waitcnt lgkmcnt(8)                                       // 000000009BE0: BF8CC87F
	s_barrier                                                  // 000000009BE4: BF8A0000
	v_mfma_f32_16x16x16_bf16 v[72:75], v[92:93], a[96:97], 0   // 000000009BE8: D3E10048 1202C15C
	v_fma_f32 v48, v48, s57, -v124                             // 000000009BF0: D1CB0030 85F07330
	v_fma_f32 v49, v49, s57, -v125                             // 000000009BF8: D1CB0031 85F47331
	v_fma_f32 v50, v50, s57, -v126                             // 000000009C00: D1CB0032 85F87332
	v_mfma_f32_16x16x16_bf16 v[72:75], v[94:95], a[98:99], v[72:75]// 000000009C08: D3E10048 1522C55E
	ds_read_b128 a[144:147], v12 offset:4352                   // 000000009C10: DBFE1100 9000000C
	ds_read_b128 a[148:151], v12 offset:4864                   // 000000009C18: DBFE1300 9400000C
	v_mfma_f32_16x16x16_bf16 v[72:75], v[96:97], a[100:101], v[72:75]// 000000009C20: D3E10048 1522C960
	v_fma_f32 v51, v51, s57, -v127                             // 000000009C28: D1CB0033 85FC7333
	v_fma_f32 v52, v52, s57, -v124                             // 000000009C30: D1CB0034 85F07334
	v_fma_f32 v53, v53, s57, -v125                             // 000000009C38: D1CB0035 85F47335
	v_mfma_f32_16x16x16_bf16 v[72:75], v[98:99], a[102:103], v[72:75]// 000000009C40: D3E10048 1522CD62
	v_fma_f32 v54, v54, s57, -v126                             // 000000009C48: D1CB0036 85F87336
	v_fma_f32 v55, v55, s57, -v127                             // 000000009C50: D1CB0037 85FC7337
	v_fma_f32 v56, v56, s57, -v124                             // 000000009C58: D1CB0038 85F07338
	v_mfma_f32_16x16x16_bf16 v[72:75], v[100:101], a[104:105], v[72:75]// 000000009C60: D3E10048 1522D164
	v_fma_f32 v57, v57, s57, -v125                             // 000000009C68: D1CB0039 85F47339
	v_fma_f32 v58, v58, s57, -v126                             // 000000009C70: D1CB003A 85F8733A
	v_fma_f32 v59, v59, s57, -v127                             // 000000009C78: D1CB003B 85FC733B
	v_mfma_f32_16x16x16_bf16 v[72:75], v[102:103], a[106:107], v[72:75]// 000000009C80: D3E10048 1522D566
	ds_read_b128 a[152:155], v12 offset:6528                   // 000000009C88: DBFE1980 9800000C
	ds_read_b128 a[156:159], v12 offset:7040                   // 000000009C90: DBFE1B80 9C00000C
	v_mfma_f32_16x16x16_bf16 v[72:75], v[104:105], a[108:109], v[72:75]// 000000009C98: D3E10048 1522D968
	v_exp_f32_e32 v48, v48                                     // 000000009CA0: 7E604130
	v_mfma_f32_16x16x16_bf16 v[72:75], v[106:107], a[110:111], v[72:75]// 000000009CA4: D3E10048 1522DD6A
	v_exp_f32_e32 v49, v49                                     // 000000009CAC: 7E624131
	v_mfma_f32_16x16x16_bf16 v[76:79], v[92:93], a[112:113], 0 // 000000009CB0: D3E1004C 1202E15C
	v_exp_f32_e32 v50, v50                                     // 000000009CB8: 7E644132
	v_mfma_f32_16x16x16_bf16 v[76:79], v[94:95], a[114:115], v[76:79]// 000000009CBC: D3E1004C 1532E55E
	ds_read_b64 v[136:137], v19 offset:24320                   // 000000009CC4: D8EC5F00 88000013
	ds_read_b64 v[138:139], v19 offset:26368                   // 000000009CCC: D8EC6700 8A000013
	v_mfma_f32_16x16x16_bf16 v[76:79], v[96:97], a[116:117], v[76:79]// 000000009CD4: D3E1004C 1532E960
	v_exp_f32_e32 v51, v51                                     // 000000009CDC: 7E664133
	v_mfma_f32_16x16x16_bf16 v[76:79], v[98:99], a[118:119], v[76:79]// 000000009CE0: D3E1004C 1532ED62
	ds_read_b64 v[140:141], v19 offset:28416                   // 000000009CE8: D8EC6F00 8C000013
	ds_read_b64 v[142:143], v19 offset:30464                   // 000000009CF0: D8EC7700 8E000013
	v_mfma_f32_16x16x16_bf16 v[76:79], v[100:101], a[120:121], v[76:79]// 000000009CF8: D3E1004C 1532F164
	v_exp_f32_e32 v52, v52                                     // 000000009D00: 7E684134
	v_mfma_f32_16x16x16_bf16 v[76:79], v[102:103], a[122:123], v[76:79]// 000000009D04: D3E1004C 1532F566
	v_exp_f32_e32 v53, v53                                     // 000000009D0C: 7E6A4135
	v_mfma_f32_16x16x16_bf16 v[76:79], v[104:105], a[124:125], v[76:79]// 000000009D10: D3E1004C 1532F968
	v_exp_f32_e32 v54, v54                                     // 000000009D18: 7E6C4136
	v_mfma_f32_16x16x16_bf16 v[76:79], v[106:107], a[126:127], v[76:79]// 000000009D1C: D3E1004C 1532FD6A
	v_exp_f32_e32 v55, v55                                     // 000000009D24: 7E6E4137
	v_mfma_f32_16x16x16_bf16 v[80:83], v[92:93], a[128:129], 0 // 000000009D28: D3E10050 1203015C
	v_exp_f32_e32 v56, v56                                     // 000000009D30: 7E704138
	v_mfma_f32_16x16x16_bf16 v[80:83], v[94:95], a[130:131], v[80:83]// 000000009D34: D3E10050 1543055E
	v_exp_f32_e32 v57, v57                                     // 000000009D3C: 7E724139
	v_mfma_f32_16x16x16_bf16 v[80:83], v[96:97], a[132:133], v[80:83]// 000000009D40: D3E10050 15430960
	v_exp_f32_e32 v58, v58                                     // 000000009D48: 7E74413A
	v_mfma_f32_16x16x16_bf16 v[80:83], v[98:99], a[134:135], v[80:83]// 000000009D4C: D3E10050 15430D62
	v_exp_f32_e32 v59, v59                                     // 000000009D54: 7E76413B
	v_mfma_f32_16x16x16_bf16 v[80:83], v[100:101], a[136:137], v[80:83]// 000000009D58: D3E10050 15431164
	v_cmp_u_f32_e64 s[78:79], v48, v48                         // 000000009D60: D048004E 00026130
	v_bfe_u32 v248, v48, 16, 1                                 // 000000009D68: D1C800F8 02052130
	v_add3_u32 v248, v48, v248, v251                           // 000000009D70: D1FF00F8 07EFF130
	v_cndmask_b32_e64 v28, v248, v250, s[78:79]                // 000000009D78: D100001C 013BF5F8
	v_lshrrev_b32_e32 v28, 16, v28                             // 000000009D80: 20383890
	v_cmp_u_f32_e64 s[78:79], v49, v49                         // 000000009D84: D048004E 00026331
	v_bfe_u32 v248, v49, 16, 1                                 // 000000009D8C: D1C800F8 02052131
	v_add3_u32 v248, v49, v248, v251                           // 000000009D94: D1FF00F8 07EFF131
	v_cndmask_b32_e64 v29, v248, v250, s[78:79]                // 000000009D9C: D100001D 013BF5F8
	v_and_or_b32 v144, v29, v249, v28                          // 000000009DA4: D2010090 0473F31D
	v_cmp_u_f32_e64 s[78:79], v50, v50                         // 000000009DAC: D048004E 00026532
	v_bfe_u32 v248, v50, 16, 1                                 // 000000009DB4: D1C800F8 02052132
	v_add3_u32 v248, v50, v248, v251                           // 000000009DBC: D1FF00F8 07EFF132
	v_cndmask_b32_e64 v28, v248, v250, s[78:79]                // 000000009DC4: D100001C 013BF5F8
	v_lshrrev_b32_e32 v28, 16, v28                             // 000000009DCC: 20383890
	v_cmp_u_f32_e64 s[78:79], v51, v51                         // 000000009DD0: D048004E 00026733
	v_bfe_u32 v248, v51, 16, 1                                 // 000000009DD8: D1C800F8 02052133
	v_add3_u32 v248, v51, v248, v251                           // 000000009DE0: D1FF00F8 07EFF133
	v_cndmask_b32_e64 v29, v248, v250, s[78:79]                // 000000009DE8: D100001D 013BF5F8
	v_and_or_b32 v145, v29, v249, v28                          // 000000009DF0: D2010091 0473F31D
	v_cmp_u_f32_e64 s[78:79], v52, v52                         // 000000009DF8: D048004E 00026934
	v_bfe_u32 v248, v52, 16, 1                                 // 000000009E00: D1C800F8 02052134
	v_add3_u32 v248, v52, v248, v251                           // 000000009E08: D1FF00F8 07EFF134
	v_cndmask_b32_e64 v28, v248, v250, s[78:79]                // 000000009E10: D100001C 013BF5F8
	v_lshrrev_b32_e32 v28, 16, v28                             // 000000009E18: 20383890
	v_cmp_u_f32_e64 s[78:79], v53, v53                         // 000000009E1C: D048004E 00026B35
	v_bfe_u32 v248, v53, 16, 1                                 // 000000009E24: D1C800F8 02052135
	v_add3_u32 v248, v53, v248, v251                           // 000000009E2C: D1FF00F8 07EFF135
	v_cndmask_b32_e64 v29, v248, v250, s[78:79]                // 000000009E34: D100001D 013BF5F8
	v_and_or_b32 v146, v29, v249, v28                          // 000000009E3C: D2010092 0473F31D
	v_mfma_f32_16x16x16_bf16 v[80:83], v[102:103], a[138:139], v[80:83]// 000000009E44: D3E10050 15431566
	v_cmp_u_f32_e64 s[78:79], v54, v54                         // 000000009E4C: D048004E 00026D36
	v_bfe_u32 v248, v54, 16, 1                                 // 000000009E54: D1C800F8 02052136
	v_add3_u32 v248, v54, v248, v251                           // 000000009E5C: D1FF00F8 07EFF136
	v_cndmask_b32_e64 v28, v248, v250, s[78:79]                // 000000009E64: D100001C 013BF5F8
	v_lshrrev_b32_e32 v28, 16, v28                             // 000000009E6C: 20383890
	v_cmp_u_f32_e64 s[78:79], v55, v55                         // 000000009E70: D048004E 00026F37
	v_bfe_u32 v248, v55, 16, 1                                 // 000000009E78: D1C800F8 02052137
	v_add3_u32 v248, v55, v248, v251                           // 000000009E80: D1FF00F8 07EFF137
	v_cndmask_b32_e64 v29, v248, v250, s[78:79]                // 000000009E88: D100001D 013BF5F8
	v_and_or_b32 v147, v29, v249, v28                          // 000000009E90: D2010093 0473F31D
	v_cmp_u_f32_e64 s[78:79], v56, v56                         // 000000009E98: D048004E 00027138
	v_bfe_u32 v248, v56, 16, 1                                 // 000000009EA0: D1C800F8 02052138
	v_add3_u32 v248, v56, v248, v251                           // 000000009EA8: D1FF00F8 07EFF138
	v_cndmask_b32_e64 v28, v248, v250, s[78:79]                // 000000009EB0: D100001C 013BF5F8
	v_lshrrev_b32_e32 v28, 16, v28                             // 000000009EB8: 20383890
	v_cmp_u_f32_e64 s[78:79], v57, v57                         // 000000009EBC: D048004E 00027339
	v_bfe_u32 v248, v57, 16, 1                                 // 000000009EC4: D1C800F8 02052139
	v_add3_u32 v248, v57, v248, v251                           // 000000009ECC: D1FF00F8 07EFF139
	v_cndmask_b32_e64 v29, v248, v250, s[78:79]                // 000000009ED4: D100001D 013BF5F8
	v_and_or_b32 v148, v29, v249, v28                          // 000000009EDC: D2010094 0473F31D
	v_cmp_u_f32_e64 s[78:79], v58, v58                         // 000000009EE4: D048004E 0002753A
	v_bfe_u32 v248, v58, 16, 1                                 // 000000009EEC: D1C800F8 0205213A
	v_add3_u32 v248, v58, v248, v251                           // 000000009EF4: D1FF00F8 07EFF13A
	v_cndmask_b32_e64 v28, v248, v250, s[78:79]                // 000000009EFC: D100001C 013BF5F8
	v_lshrrev_b32_e32 v28, 16, v28                             // 000000009F04: 20383890
	v_cmp_u_f32_e64 s[78:79], v59, v59                         // 000000009F08: D048004E 0002773B
	v_bfe_u32 v248, v59, 16, 1                                 // 000000009F10: D1C800F8 0205213B
	v_add3_u32 v248, v59, v248, v251                           // 000000009F18: D1FF00F8 07EFF13B
	v_cndmask_b32_e64 v29, v248, v250, s[78:79]                // 000000009F20: D100001D 013BF5F8
	v_and_or_b32 v149, v29, v249, v28                          // 000000009F28: D2010095 0473F31D
	v_mfma_f32_16x16x16_bf16 v[80:83], v[104:105], a[140:141], v[80:83]// 000000009F30: D3E10050 15431968
	v_add_u32_e32 v7, s66, v7                                  // 000000009F38: 680E0E42
	v_add_u32_e32 v8, s66, v8                                  // 000000009F3C: 68101042
	v_mfma_f32_16x16x16_bf16 v[80:83], v[106:107], a[142:143], v[80:83]// 000000009F40: D3E10050 15431D6A
	s_waitcnt lgkmcnt(0)                                       // 000000009F48: BF8CC07F
	s_barrier                                                  // 000000009F4C: BF8A0000
	v_mfma_f32_16x16x16_bf16 v[152:155], v[108:109], v[144:145], v[152:155]// 000000009F50: D3E10098 0663216C
	v_subrev_f32_dpp v72, v150, v72 quad_perm:[0,0,0,0] row_mask:0xf bank_mask:0xf// 000000009F58: 069090FA FF000096
	v_subrev_f32_dpp v73, v150, v73 quad_perm:[1,1,1,1] row_mask:0xf bank_mask:0xf// 000000009F60: 069292FA FF005596
	v_subrev_f32_dpp v74, v150, v74 quad_perm:[2,2,2,2] row_mask:0xf bank_mask:0xf// 000000009F68: 069494FA FF00AA96
	v_mfma_f32_16x16x16_bf16 v[156:159], v[110:111], v[144:145], v[156:159]// 000000009F70: D3E1009C 0673216E
	v_subrev_f32_dpp v75, v150, v75 quad_perm:[3,3,3,3] row_mask:0xf bank_mask:0xf// 000000009F78: 069696FA FF00FF96
	v_subrev_f32_dpp v76, v150, v76 quad_perm:[0,0,0,0] row_mask:0xf bank_mask:0xf// 000000009F80: 069898FA FF000096
	v_subrev_f32_dpp v77, v150, v77 quad_perm:[1,1,1,1] row_mask:0xf bank_mask:0xf// 000000009F88: 069A9AFA FF005596
	v_mfma_f32_16x16x16_bf16 v[160:163], v[112:113], v[144:145], v[160:163]// 000000009F90: D3E100A0 06832170
	v_mul_f32_e32 v72, v48, v72                                // 000000009F98: 0A909130
	v_mul_f32_e32 v73, v49, v73                                // 000000009F9C: 0A929331
	v_mul_f32_e32 v74, v50, v74                                // 000000009FA0: 0A949532
	v_mfma_f32_16x16x16_bf16 v[164:167], v[114:115], v[144:145], v[164:167]// 000000009FA4: D3E100A4 06932172
	v_mul_f32_e32 v75, v51, v75                                // 000000009FAC: 0A969733
	v_mul_f32_e32 v76, v52, v76                                // 000000009FB0: 0A989934
	v_mul_f32_e32 v77, v53, v77                                // 000000009FB4: 0A9A9B35
	v_mfma_f32_16x16x16_bf16 v[168:171], v[116:117], v[144:145], v[168:171]// 000000009FB8: D3E100A8 06A32174
	v_cmp_u_f32_e64 s[78:79], v72, v72                         // 000000009FC0: D048004E 00029148
	v_bfe_u32 v248, v72, 16, 1                                 // 000000009FC8: D1C800F8 02052148
	v_add3_u32 v248, v72, v248, v251                           // 000000009FD0: D1FF00F8 07EFF148
	v_cndmask_b32_e64 v28, v248, v250, s[78:79]                // 000000009FD8: D100001C 013BF5F8
	v_lshrrev_b32_e32 v28, 16, v28                             // 000000009FE0: 20383890
	v_cmp_u_f32_e64 s[78:79], v73, v73                         // 000000009FE4: D048004E 00029349
	v_bfe_u32 v248, v73, 16, 1                                 // 000000009FEC: D1C800F8 02052149
	v_add3_u32 v248, v73, v248, v251                           // 000000009FF4: D1FF00F8 07EFF149
	v_cndmask_b32_e64 v29, v248, v250, s[78:79]                // 000000009FFC: D100001D 013BF5F8
	v_and_or_b32 v72, v29, v249, v28                           // 00000000A004: D2010048 0473F31D
	v_cmp_u_f32_e64 s[78:79], v74, v74                         // 00000000A00C: D048004E 0002954A
	v_bfe_u32 v248, v74, 16, 1                                 // 00000000A014: D1C800F8 0205214A
	v_add3_u32 v248, v74, v248, v251                           // 00000000A01C: D1FF00F8 07EFF14A
	v_cndmask_b32_e64 v28, v248, v250, s[78:79]                // 00000000A024: D100001C 013BF5F8
	v_lshrrev_b32_e32 v28, 16, v28                             // 00000000A02C: 20383890
	v_cmp_u_f32_e64 s[78:79], v75, v75                         // 00000000A030: D048004E 0002974B
	v_bfe_u32 v248, v75, 16, 1                                 // 00000000A038: D1C800F8 0205214B
	v_add3_u32 v248, v75, v248, v251                           // 00000000A040: D1FF00F8 07EFF14B
	v_cndmask_b32_e64 v29, v248, v250, s[78:79]                // 00000000A048: D100001D 013BF5F8
	v_and_or_b32 v73, v29, v249, v28                           // 00000000A050: D2010049 0473F31D
	v_cmp_u_f32_e64 s[78:79], v76, v76                         // 00000000A058: D048004E 0002994C
	v_bfe_u32 v248, v76, 16, 1                                 // 00000000A060: D1C800F8 0205214C
	v_add3_u32 v248, v76, v248, v251                           // 00000000A068: D1FF00F8 07EFF14C
	v_cndmask_b32_e64 v28, v248, v250, s[78:79]                // 00000000A070: D100001C 013BF5F8
	v_lshrrev_b32_e32 v28, 16, v28                             // 00000000A078: 20383890
	v_cmp_u_f32_e64 s[78:79], v77, v77                         // 00000000A07C: D048004E 00029B4D
	v_bfe_u32 v248, v77, 16, 1                                 // 00000000A084: D1C800F8 0205214D
	v_add3_u32 v248, v77, v248, v251                           // 00000000A08C: D1FF00F8 07EFF14D
	v_cndmask_b32_e64 v29, v248, v250, s[78:79]                // 00000000A094: D100001D 013BF5F8
	v_and_or_b32 v74, v29, v249, v28                           // 00000000A09C: D201004A 0473F31D
	v_mfma_f32_16x16x16_bf16 v[172:175], v[118:119], v[144:145], v[172:175]// 00000000A0A4: D3E100AC 06B32176
	v_mov_b32_dpp v16, v72 quad_perm:[1,0,3,2] row_mask:0xf bank_mask:0xf// 00000000A0AC: 7E2002FA FF00B148
	v_perm_b32 v48, v16, v72, v15                              // 00000000A0B4: D1ED0030 043E9110
	v_mov_b32_dpp v16, v73 quad_perm:[1,0,3,2] row_mask:0xf bank_mask:0xf// 00000000A0BC: 7E2002FA FF00B149
	v_mfma_f32_16x16x16_bf16 v[176:179], v[120:121], v[144:145], v[176:179]// 00000000A0C4: D3E100B0 06C32178
	ds_write_b32 v18, v48 offset:17408                         // 00000000A0CC: D81A4400 00003012
	v_mfma_f32_16x16x16_bf16 v[180:183], v[122:123], v[144:145], v[180:183]// 00000000A0D4: D3E100B4 06D3217A
	v_perm_b32 v49, v16, v73, v15                              // 00000000A0DC: D1ED0031 043E9310
	v_mov_b32_dpp v16, v74 quad_perm:[1,0,3,2] row_mask:0xf bank_mask:0xf// 00000000A0E4: 7E2002FA FF00B14A
	v_perm_b32 v50, v16, v74, v15                              // 00000000A0EC: D1ED0032 043E9510
	v_mfma_f32_16x16x16_bf16 v[184:187], v[108:109], v[146:147], v[184:187]// 00000000A0F4: D3E100B8 06E3256C
	ds_write_b32 v18, v49 offset:17952                         // 00000000A0FC: D81A4620 00003112
	v_mfma_f32_16x16x16_bf16 v[188:191], v[110:111], v[146:147], v[188:191]// 00000000A104: D3E100BC 06F3256E
	v_subrev_f32_dpp v78, v150, v78 quad_perm:[2,2,2,2] row_mask:0xf bank_mask:0xf// 00000000A10C: 069C9CFA FF00AA96
	v_subrev_f32_dpp v79, v150, v79 quad_perm:[3,3,3,3] row_mask:0xf bank_mask:0xf// 00000000A114: 069E9EFA FF00FF96
	v_subrev_f32_dpp v80, v150, v80 quad_perm:[0,0,0,0] row_mask:0xf bank_mask:0xf// 00000000A11C: 06A0A0FA FF000096
	v_mfma_f32_16x16x16_bf16 v[192:195], v[112:113], v[146:147], v[192:195]// 00000000A124: D3E100C0 07032570
	ds_write_b32 v18, v50 offset:19712                         // 00000000A12C: D81A4D00 00003212
	v_mfma_f32_16x16x16_bf16 v[196:199], v[114:115], v[146:147], v[196:199]// 00000000A134: D3E100C4 07132572
	v_subrev_f32_dpp v81, v150, v81 quad_perm:[1,1,1,1] row_mask:0xf bank_mask:0xf// 00000000A13C: 06A2A2FA FF005596
	v_subrev_f32_dpp v82, v150, v82 quad_perm:[2,2,2,2] row_mask:0xf bank_mask:0xf// 00000000A144: 06A4A4FA FF00AA96
	v_subrev_f32_dpp v83, v150, v83 quad_perm:[3,3,3,3] row_mask:0xf bank_mask:0xf// 00000000A14C: 06A6A6FA FF00FF96
	v_mfma_f32_16x16x16_bf16 v[200:203], v[116:117], v[146:147], v[200:203]// 00000000A154: D3E100C8 07232574
	v_mul_f32_e32 v78, v54, v78                                // 00000000A15C: 0A9C9D36
	v_mul_f32_e32 v79, v55, v79                                // 00000000A160: 0A9E9F37
	v_mul_f32_e32 v80, v56, v80                                // 00000000A164: 0AA0A138
	v_mfma_f32_16x16x16_bf16 v[204:207], v[118:119], v[146:147], v[204:207]// 00000000A168: D3E100CC 07332576
	v_mul_f32_e32 v81, v57, v81                                // 00000000A170: 0AA2A339
	v_mul_f32_e32 v82, v58, v82                                // 00000000A174: 0AA4A53A
	v_mul_f32_e32 v83, v59, v83                                // 00000000A178: 0AA6A73B
	v_mfma_f32_16x16x16_bf16 v[208:211], v[120:121], v[146:147], v[208:211]// 00000000A17C: D3E100D0 07432578
	v_cmp_u_f32_e64 s[78:79], v78, v78                         // 00000000A184: D048004E 00029D4E
	v_bfe_u32 v248, v78, 16, 1                                 // 00000000A18C: D1C800F8 0205214E
	v_add3_u32 v248, v78, v248, v251                           // 00000000A194: D1FF00F8 07EFF14E
	v_cndmask_b32_e64 v28, v248, v250, s[78:79]                // 00000000A19C: D100001C 013BF5F8
	v_lshrrev_b32_e32 v28, 16, v28                             // 00000000A1A4: 20383890
	v_cmp_u_f32_e64 s[78:79], v79, v79                         // 00000000A1A8: D048004E 00029F4F
	v_bfe_u32 v248, v79, 16, 1                                 // 00000000A1B0: D1C800F8 0205214F
	v_add3_u32 v248, v79, v248, v251                           // 00000000A1B8: D1FF00F8 07EFF14F
	v_cndmask_b32_e64 v29, v248, v250, s[78:79]                // 00000000A1C0: D100001D 013BF5F8
	v_and_or_b32 v75, v29, v249, v28                           // 00000000A1C8: D201004B 0473F31D
	v_cmp_u_f32_e64 s[78:79], v80, v80                         // 00000000A1D0: D048004E 0002A150
	v_bfe_u32 v248, v80, 16, 1                                 // 00000000A1D8: D1C800F8 02052150
	v_add3_u32 v248, v80, v248, v251                           // 00000000A1E0: D1FF00F8 07EFF150
	v_cndmask_b32_e64 v28, v248, v250, s[78:79]                // 00000000A1E8: D100001C 013BF5F8
	v_lshrrev_b32_e32 v28, 16, v28                             // 00000000A1F0: 20383890
	v_cmp_u_f32_e64 s[78:79], v81, v81                         // 00000000A1F4: D048004E 0002A351
	v_bfe_u32 v248, v81, 16, 1                                 // 00000000A1FC: D1C800F8 02052151
	v_add3_u32 v248, v81, v248, v251                           // 00000000A204: D1FF00F8 07EFF151
	v_cndmask_b32_e64 v29, v248, v250, s[78:79]                // 00000000A20C: D100001D 013BF5F8
	v_and_or_b32 v76, v29, v249, v28                           // 00000000A214: D201004C 0473F31D
	v_cmp_u_f32_e64 s[78:79], v82, v82                         // 00000000A21C: D048004E 0002A552
	v_bfe_u32 v248, v82, 16, 1                                 // 00000000A224: D1C800F8 02052152
	v_add3_u32 v248, v82, v248, v251                           // 00000000A22C: D1FF00F8 07EFF152
	v_cndmask_b32_e64 v28, v248, v250, s[78:79]                // 00000000A234: D100001C 013BF5F8
	v_lshrrev_b32_e32 v28, 16, v28                             // 00000000A23C: 20383890
	v_cmp_u_f32_e64 s[78:79], v83, v83                         // 00000000A240: D048004E 0002A753
	v_bfe_u32 v248, v83, 16, 1                                 // 00000000A248: D1C800F8 02052153
	v_add3_u32 v248, v83, v248, v251                           // 00000000A250: D1FF00F8 07EFF153
	v_cndmask_b32_e64 v29, v248, v250, s[78:79]                // 00000000A258: D100001D 013BF5F8
	v_and_or_b32 v77, v29, v249, v28                           // 00000000A260: D201004D 0473F31D
	v_mfma_f32_16x16x16_bf16 v[212:215], v[122:123], v[146:147], v[212:215]// 00000000A268: D3E100D4 0753257A
	v_mov_b32_dpp v16, v75 quad_perm:[1,0,3,2] row_mask:0xf bank_mask:0xf// 00000000A270: 7E2002FA FF00B14B
	v_perm_b32 v51, v16, v75, v15                              // 00000000A278: D1ED0033 043E9710
	v_mov_b32_dpp v16, v76 quad_perm:[1,0,3,2] row_mask:0xf bank_mask:0xf// 00000000A280: 7E2002FA FF00B14C
	v_mfma_f32_16x16x16_bf16 v[216:219], v[108:109], v[148:149], v[216:219]// 00000000A288: D3E100D8 0763296C
	ds_write_b32 v18, v51 offset:20256                         // 00000000A290: D81A4F20 00003312
	v_mfma_f32_16x16x16_bf16 v[220:223], v[110:111], v[148:149], v[220:223]// 00000000A298: D3E100DC 0773296E
	v_perm_b32 v52, v16, v76, v15                              // 00000000A2A0: D1ED0034 043E9910
	v_mov_b32_dpp v16, v77 quad_perm:[1,0,3,2] row_mask:0xf bank_mask:0xf// 00000000A2A8: 7E2002FA FF00B14D
	v_perm_b32 v53, v16, v77, v15                              // 00000000A2B0: D1ED0035 043E9B10
	v_mfma_f32_16x16x16_bf16 v[224:227], v[112:113], v[148:149], v[224:227]// 00000000A2B8: D3E100E0 07832970
	ds_write_b32 v18, v52 offset:22016                         // 00000000A2C0: D81A5600 00003412
	ds_write_b32 v18, v53 offset:22560                         // 00000000A2C8: D81A5820 00003512
	v_mfma_f32_16x16x16_bf16 v[228:231], v[114:115], v[148:149], v[228:231]// 00000000A2D0: D3E100E4 07932972
	v_mfma_f32_16x16x16_bf16 v[232:235], v[116:117], v[148:149], v[232:235]// 00000000A2D8: D3E100E8 07A32974
	ds_write_b32 v13, v84 offset:4352                          // 00000000A2E0: D81A1100 0000540D
	ds_write_b32 v13, v85 offset:5408                          // 00000000A2E8: D81A1520 0000550D
	v_mfma_f32_16x16x16_bf16 v[236:239], v[118:119], v[148:149], v[236:239]// 00000000A2F0: D3E100EC 07B32976
	v_mfma_f32_16x16x16_bf16 v[240:243], v[120:121], v[148:149], v[240:243]// 00000000A2F8: D3E100F0 07C32978
	ds_write_b32 v13, v86 offset:4480                          // 00000000A300: D81A1180 0000560D
	ds_write_b32 v13, v87 offset:5536                          // 00000000A308: D81A15A0 0000570D
	v_mfma_f32_16x16x16_bf16 v[244:247], v[122:123], v[148:149], v[244:247]// 00000000A310: D3E100F4 07D3297A
	s_nop 0                                                    // 00000000A318: BF800000
	s_nop 0                                                    // 00000000A31C: BF800000
	s_nop 0                                                    // 00000000A320: BF800000
	s_barrier                                                  // 00000000A324: BF8A0000
	v_mfma_f32_16x16x16_bf16 a[160:163], a[144:145], v[72:73], a[160:163]// 00000000A328: D3E180A0 0E829190
	ds_read_b32 v124, v21 offset:50688                         // 00000000A330: D86CC600 7C000015
	ds_read_b32 v150, v21 offset:50944                         // 00000000A338: D86CC700 96000015
	v_mfma_f32_16x16x16_bf16 a[164:167], a[146:147], v[72:73], a[164:167]// 00000000A340: D3E180A4 0E929192
	buffer_atomic_add_f32 v136, v7, s[32:35], 0 offen          // 00000000A348: E1341000 80088807
	v_mfma_f32_16x16x16_bf16 a[168:171], a[148:149], v[72:73], a[168:171]// 00000000A350: D3E180A8 0EA29194
	s_waitcnt lgkmcnt(6)                                       // 00000000A358: BF8CC67F
	s_barrier                                                  // 00000000A35C: BF8A0000
	v_mfma_f32_16x16x16_bf16 a[172:175], a[150:151], v[72:73], a[172:175]// 00000000A360: D3E180AC 0EB29196
	v_mfma_f32_16x16x16_bf16 a[176:179], a[152:153], v[72:73], a[176:179]// 00000000A368: D3E180B0 0EC29198
	ds_read_b128 v[48:51], v17 offset:17408                    // 00000000A370: D9FE4400 30000011
	v_mfma_f32_16x16x16_bf16 a[180:183], a[154:155], v[72:73], a[180:183]// 00000000A378: D3E180B4 0ED2919A
	v_mfma_f32_16x16x16_bf16 a[184:187], a[156:157], v[72:73], a[184:187]// 00000000A380: D3E180B8 0EE2919C
	ds_read_b128 v[52:55], v17 offset:18560                    // 00000000A388: D9FE4880 34000011
	v_mfma_f32_16x16x16_bf16 a[188:191], a[158:159], v[72:73], a[188:191]// 00000000A390: D3E180BC 0EF2919E
	buffer_atomic_add_f32 v137, v8, s[32:35], 0 offen          // 00000000A398: E1341000 80088908
	v_mfma_f32_16x16x16_bf16 a[192:195], a[144:145], v[74:75], a[192:195]// 00000000A3A0: D3E180C0 0F029590
	ds_read_b128 v[56:59], v17 offset:19712                    // 00000000A3A8: D9FE4D00 38000011
	v_mfma_f32_16x16x16_bf16 a[196:199], a[146:147], v[74:75], a[196:199]// 00000000A3B0: D3E180C4 0F129592
	v_mfma_f32_16x16x16_bf16 a[200:203], a[148:149], v[74:75], a[200:203]// 00000000A3B8: D3E180C8 0F229594
	ds_read_b128 v[60:63], v17 offset:20864                    // 00000000A3C0: D9FE5180 3C000011
	v_mfma_f32_16x16x16_bf16 a[204:207], a[150:151], v[74:75], a[204:207]// 00000000A3C8: D3E180CC 0F329596
	v_mfma_f32_16x16x16_bf16 a[208:211], a[152:153], v[74:75], a[208:211]// 00000000A3D0: D3E180D0 0F429598
	ds_read_b128 v[64:67], v17 offset:22016                    // 00000000A3D8: D9FE5600 40000011
	v_mfma_f32_16x16x16_bf16 a[212:215], a[154:155], v[74:75], a[212:215]// 00000000A3E0: D3E180D4 0F52959A
	buffer_atomic_add_f32 v138, v7, s[32:35], 0 offen offset:128// 00000000A3E8: E1341080 80088A07
	v_mfma_f32_16x16x16_bf16 a[216:219], a[156:157], v[74:75], a[216:219]// 00000000A3F0: D3E180D8 0F62959C
	ds_read_b128 v[68:71], v17 offset:23168                    // 00000000A3F8: D9FE5A80 44000011
	v_mfma_f32_16x16x16_bf16 a[220:223], a[158:159], v[74:75], a[220:223]// 00000000A400: D3E180DC 0F72959E
	v_mfma_f32_16x16x16_bf16 a[224:227], a[144:145], v[76:77], a[224:227]// 00000000A408: D3E180E0 0F829990
	ds_write_b32 v13, v88 offset:13056                         // 00000000A410: D81A3300 0000580D
	v_mfma_f32_16x16x16_bf16 a[228:231], a[146:147], v[76:77], a[228:231]// 00000000A418: D3E180E4 0F929992
	v_mfma_f32_16x16x16_bf16 a[232:235], a[148:149], v[76:77], a[232:235]// 00000000A420: D3E180E8 0FA29994
	ds_write_b32 v13, v89 offset:14112                         // 00000000A428: D81A3720 0000590D
	v_mfma_f32_16x16x16_bf16 a[236:239], a[150:151], v[76:77], a[236:239]// 00000000A430: D3E180EC 0FB29996
	buffer_atomic_add_f32 v139, v8, s[32:35], 0 offen offset:128// 00000000A438: E1341080 80088B08
	v_mfma_f32_16x16x16_bf16 a[240:243], a[152:153], v[76:77], a[240:243]// 00000000A440: D3E180F0 0FC29998
	ds_write_b32 v13, v90 offset:13184                         // 00000000A448: D81A3380 00005A0D
	v_mfma_f32_16x16x16_bf16 a[244:247], a[154:155], v[76:77], a[244:247]// 00000000A450: D3E180F4 0FD2999A
	v_mfma_f32_16x16x16_bf16 a[248:251], a[156:157], v[76:77], a[248:251]// 00000000A458: D3E180F8 0FE2999C
	ds_write_b32 v13, v91 offset:14240                         // 00000000A460: D81A37A0 00005B0D
	v_mfma_f32_16x16x16_bf16 a[252:255], a[158:159], v[76:77], a[252:255]// 00000000A468: D3E180FC 0FF2999E
	s_waitcnt vmcnt(8) lgkmcnt(4)                              // 00000000A470: BF8C0478
	s_barrier                                                  // 00000000A474: BF8A0000
	v_mfma_f32_16x16x16_bf16 v[128:131], v[48:49], a[48:49], 0 // 00000000A478: D3E10080 12026130
	ds_read_b128 a[144:147], v10                               // 00000000A480: DBFE0000 9000000A
	v_mov_b32_e32 v32, 0                                       // 00000000A488: 7E400280
	s_mov_b64 exec, s[82:83]                                   // 00000000A48C: BEFE0152
	buffer_load_dword v32, v1, s[8:11], 0 idxen                // 00000000A490: E0502000 80022001
	s_mov_b32 exec_lo, -1                                      // 00000000A498: BEFE00C1
	s_mov_b32 exec_hi, -1                                      // 00000000A49C: BEFF00C1
	v_mfma_f32_16x16x16_bf16 v[128:131], v[50:51], a[52:53], v[128:131]// 00000000A4A0: D3E10080 16026932
	v_mul_f32_e32 v124, s48, v124                              // 00000000A4A8: 0AF8F830
	s_nop 0                                                    // 00000000A4AC: BF800000
	v_mfma_f32_16x16x16_bf16 v[128:131], v[52:53], a[56:57], v[128:131]// 00000000A4B0: D3E10080 16027134
	ds_read_b128 a[148:151], v10 offset:512                    // 00000000A4B8: DBFE0200 9400000A
	v_mov_b32_e32 v33, 0                                       // 00000000A4C0: 7E420280
	s_mov_b64 exec, s[82:83]                                   // 00000000A4C4: BEFE0152
	buffer_load_dword v33, v2, s[8:11], 0 idxen                // 00000000A4C8: E0502000 80022102
	s_mov_b32 exec_lo, -1                                      // 00000000A4D0: BEFE00C1
	s_mov_b32 exec_hi, -1                                      // 00000000A4D4: BEFF00C1
	v_mfma_f32_16x16x16_bf16 v[128:131], v[54:55], a[60:61], v[128:131]// 00000000A4D8: D3E10080 16027936
	v_mfma_f32_16x16x16_bf16 v[128:131], v[56:57], a[64:65], v[128:131]// 00000000A4E0: D3E10080 16028138
	ds_read_b128 a[152:155], v10 offset:2176                   // 00000000A4E8: DBFE0880 9800000A
	v_mov_b32_e32 v34, 0                                       // 00000000A4F0: 7E440280
	s_mov_b64 exec, s[82:83]                                   // 00000000A4F4: BEFE0152
	buffer_load_dword v34, v3, s[8:11], 0 idxen                // 00000000A4F8: E0502000 80022203
	s_mov_b32 exec_lo, -1                                      // 00000000A500: BEFE00C1
	s_mov_b32 exec_hi, -1                                      // 00000000A504: BEFF00C1
	v_mfma_f32_16x16x16_bf16 v[128:131], v[58:59], a[68:69], v[128:131]// 00000000A508: D3E10080 1602893A
	v_perm_b32 v84, v37, v36, s63                              // 00000000A510: D1ED0054 00FE4925
	v_perm_b32 v85, v37, v36, s64                              // 00000000A518: D1ED0055 01024925
	v_mfma_f32_16x16x16_bf16 v[128:131], v[60:61], a[72:73], v[128:131]// 00000000A520: D3E10080 1602913C
	ds_read_b128 a[156:159], v10 offset:2688                   // 00000000A528: DBFE0A80 9C00000A
	v_mov_b32_e32 v35, 0                                       // 00000000A530: 7E460280
	s_mov_b64 exec, s[82:83]                                   // 00000000A534: BEFE0152
	buffer_load_dword v35, v4, s[8:11], 0 idxen                // 00000000A538: E0502000 80022304
	s_mov_b32 exec_lo, -1                                      // 00000000A540: BEFE00C1
	s_mov_b32 exec_hi, -1                                      // 00000000A544: BEFF00C1
	v_mfma_f32_16x16x16_bf16 v[128:131], v[62:63], a[76:77], v[128:131]// 00000000A548: D3E10080 1602993E
	v_perm_b32 v86, v39, v38, s63                              // 00000000A550: D1ED0056 00FE4D27
	v_perm_b32 v87, v39, v38, s64                              // 00000000A558: D1ED0057 01024D27
	v_mfma_f32_16x16x16_bf16 v[128:131], v[64:65], a[80:81], v[128:131]// 00000000A560: D3E10080 1602A140
	ds_read_b128 v[92:95], v10 offset:8704                     // 00000000A568: D9FE2200 5C00000A
	v_mov_b32_e32 v40, 0                                       // 00000000A570: 7E500280
	s_mov_b64 exec, s[82:83]                                   // 00000000A574: BEFE0152
	buffer_load_dword v40, v252, s[20:23], 0 idxen             // 00000000A578: E0502000 800528FC
	s_mov_b32 exec_lo, -1                                      // 00000000A580: BEFE00C1
	s_mov_b32 exec_hi, -1                                      // 00000000A584: BEFF00C1
	v_mfma_f32_16x16x16_bf16 v[128:131], v[66:67], a[84:85], v[128:131]// 00000000A588: D3E10080 1602A942
	v_perm_b32 v88, v45, v44, s63                              // 00000000A590: D1ED0058 00FE592D
	v_perm_b32 v89, v45, v44, s64                              // 00000000A598: D1ED0059 0102592D
	v_mfma_f32_16x16x16_bf16 v[128:131], v[68:69], a[88:89], v[128:131]// 00000000A5A0: D3E10080 1602B144
	ds_read_b128 v[96:99], v10 offset:9216                     // 00000000A5A8: D9FE2400 6000000A
	v_mov_b32_e32 v41, 0                                       // 00000000A5B0: 7E520280
	s_mov_b64 exec, s[82:83]                                   // 00000000A5B4: BEFE0152
	buffer_load_dword v41, v253, s[20:23], 0 idxen             // 00000000A5B8: E0502000 800529FD
	s_mov_b32 exec_lo, -1                                      // 00000000A5C0: BEFE00C1
	s_mov_b32 exec_hi, -1                                      // 00000000A5C4: BEFF00C1
	v_mfma_f32_16x16x16_bf16 v[128:131], v[70:71], a[92:93], v[128:131]// 00000000A5C8: D3E10080 1602B946
	v_perm_b32 v90, v47, v46, s63                              // 00000000A5D0: D1ED005A 00FE5D2F
	v_perm_b32 v91, v47, v46, s64                              // 00000000A5D8: D1ED005B 01025D2F
	v_mfma_f32_16x16x16_bf16 v[132:135], v[48:49], a[50:51], 0 // 00000000A5E0: D3E10084 12026530
	ds_read_b128 v[100:103], v10 offset:10880                  // 00000000A5E8: D9FE2A80 6400000A
	v_mov_b32_e32 v42, 0                                       // 00000000A5F0: 7E540280
	s_mov_b64 exec, s[82:83]                                   // 00000000A5F4: BEFE0152
	buffer_load_dword v42, v254, s[20:23], 0 idxen             // 00000000A5F8: E0502000 80052AFE
	s_mov_b32 exec_lo, -1                                      // 00000000A600: BEFE00C1
	s_mov_b32 exec_hi, -1                                      // 00000000A604: BEFF00C1
	v_mfma_f32_16x16x16_bf16 v[132:135], v[50:51], a[54:55], v[132:135]// 00000000A608: D3E10084 16126D32
	v_mov_b32_dpp v127, v124 quad_perm:[3,3,3,3] row_mask:0xf bank_mask:0xf// 00000000A610: 7EFE02FA FF00FF7C
	v_mov_b32_dpp v126, v124 quad_perm:[2,2,2,2] row_mask:0xf bank_mask:0xf// 00000000A618: 7EFC02FA FF00AA7C
	v_mfma_f32_16x16x16_bf16 v[132:135], v[52:53], a[58:59], v[132:135]// 00000000A620: D3E10084 16127534
	ds_read_b128 v[104:107], v10 offset:11392                  // 00000000A628: D9FE2C80 6800000A
	v_mov_b32_e32 v43, 0                                       // 00000000A630: 7E560280
	s_mov_b64 exec, s[82:83]                                   // 00000000A634: BEFE0152
	buffer_load_dword v43, v255, s[20:23], 0 idxen             // 00000000A638: E0502000 80052BFF
	s_mov_b32 exec_lo, -1                                      // 00000000A640: BEFE00C1
	s_mov_b32 exec_hi, -1                                      // 00000000A644: BEFF00C1
	v_mfma_f32_16x16x16_bf16 v[132:135], v[54:55], a[62:63], v[132:135]// 00000000A648: D3E10084 16127D36
	v_mov_b32_dpp v125, v124 quad_perm:[1,1,1,1] row_mask:0xf bank_mask:0xf// 00000000A650: 7EFA02FA FF00557C
	v_mov_b32_dpp v124, v124 quad_perm:[0,0,0,0] row_mask:0xf bank_mask:0xf// 00000000A658: 7EF802FA FF00007C
	s_add_u32 s60, 64, s59                                     // 00000000A660: 803C3BC0
	v_mfma_f32_16x16x16_bf16 v[132:135], v[56:57], a[66:67], v[132:135]// 00000000A664: D3E10084 16128538
	buffer_load_dword v9, s[24:27], 0 idxen lds                // 00000000A66C: E0512000 80060009
	v_mfma_f32_16x16x16_bf16 v[132:135], v[58:59], a[70:71], v[132:135]// 00000000A674: D3E10084 16128D3A
	s_cmp_lt_u32 s60, s58                                      // 00000000A67C: BF0A3A3C
	s_cselect_b32 s68, s68, 0                                  // 00000000A680: 85448044
	s_cselect_b32 s100, s100, 0                                // 00000000A684: 85648064
	s_cselect_b32 s69, s69, 0                                  // 00000000A688: 85458045
	v_mfma_f32_16x16x16_bf16 v[132:135], v[60:61], a[74:75], v[132:135]// 00000000A68C: D3E10084 1612953C
	v_add_u32_e32 v1, s68, v1                                  // 00000000A694: 68020244
	v_add_u32_e32 v2, s68, v2                                  // 00000000A698: 68040444
	v_add_u32_e32 v3, s68, v3                                  // 00000000A69C: 68060644
	v_add_u32_e32 v4, s68, v4                                  // 00000000A6A0: 68080844
	v_mfma_f32_16x16x16_bf16 v[132:135], v[62:63], a[78:79], v[132:135]// 00000000A6A4: D3E10084 16129D3E
	v_add_u32_e32 v252, s100, v252                             // 00000000A6AC: 69F9F864
	v_add_u32_e32 v253, s100, v253                             // 00000000A6B0: 69FBFA64
	v_add_u32_e32 v254, s100, v254                             // 00000000A6B4: 69FDFC64
	v_add_u32_e32 v255, s100, v255                             // 00000000A6B8: 69FFFE64
	v_mfma_f32_16x16x16_bf16 v[132:135], v[64:65], a[82:83], v[132:135]// 00000000A6BC: D3E10084 1612A540
	s_mov_b32 m0, s81                                          // 00000000A6C4: BEFC0051
	v_add_u32_e32 v9, s69, v9                                  // 00000000A6C8: 68121245
	v_mfma_f32_16x16x16_bf16 v[132:135], v[66:67], a[86:87], v[132:135]// 00000000A6CC: D3E10084 1612AD42
	s_cmp_ge_u32 s59, s73                                      // 00000000A6D4: BF09493B
	s_cselect_b32 s66, s67, s66                                // 00000000A6D8: 85424243
	v_mfma_f32_16x16x16_bf16 v[132:135], v[68:69], a[90:91], v[132:135]// 00000000A6DC: D3E10084 1612B544
	s_addk_i32 s59, 0x10                                       // 00000000A6E4: B73B0010
	s_nop 0                                                    // 00000000A6E8: BF800000
	s_cmp_lt_i32 s59, s58                                      // 00000000A6EC: BF043A3B
	v_mfma_f32_16x16x16_bf16 v[132:135], v[70:71], a[94:95], v[132:135]// 00000000A6F0: D3E10084 1612BD46
	s_cbranch_scc0 label_1264                                  // 00000000A6F8: BF84F81B
	s_branch label_1267                                        // 00000000A6FC: BF82F81D

000000000000a700 <label_1A54>:
	buffer_atomic_add_f32 v140, v7, s[32:35], 0 offen offset:256// 00000000A700: E1341100 80088C07
	buffer_atomic_add_f32 v141, v8, s[32:35], 0 offen offset:256// 00000000A708: E1341100 80088D08
	buffer_atomic_add_f32 v142, v7, s[32:35], 0 offen offset:384// 00000000A710: E1341180 80088E07
	buffer_atomic_add_f32 v143, v8, s[32:35], 0 offen offset:384// 00000000A718: E1341180 80088F08
	v_add_u32_e32 v7, s66, v7                                  // 00000000A720: 680E0E42
	v_add_u32_e32 v8, s66, v8                                  // 00000000A724: 68101042
	v_lshrrev_b32_e32 v28, 5, v0                               // 00000000A728: 20380085
	v_mul_i32_i24_e32 v25, 0x42, v28                           // 00000000A72C: 0C3238FF 00000042
	v_and_b32_e32 v28, 31, v0                                  // 00000000A734: 2638009F
	v_mul_i32_i24_e32 v29, 2, v28                              // 00000000A738: 0C3A3882
	v_add_u32_e32 v25, v29, v25                                // 00000000A73C: 6832331D
	s_mul_i32 s60, s46, 0x420                                  // 00000000A740: 923CFF2E 00000420
	v_add_u32_e32 v25, s60, v25                                // 00000000A748: 6832323C
	v_lshlrev_b32_e32 v25, 2, v25                              // 00000000A74C: 24323282
	v_mul_f32_e32 v128, s47, v128                              // 00000000A750: 0B01002F
	v_mul_f32_e32 v129, s47, v129                              // 00000000A754: 0B03022F
	v_mul_f32_e32 v130, s47, v130                              // 00000000A758: 0B05042F
	v_mul_f32_e32 v131, s47, v131                              // 00000000A75C: 0B07062F
	v_mul_f32_e32 v132, s47, v132                              // 00000000A760: 0B09082F
	v_mul_f32_e32 v133, s47, v133                              // 00000000A764: 0B0B0A2F
	v_mul_f32_e32 v134, s47, v134                              // 00000000A768: 0B0D0C2F
	v_mul_f32_e32 v135, s47, v135                              // 00000000A76C: 0B0F0E2F
	ds_write_b64 v20, v[128:129] offset:24320                  // 00000000A770: D89A5F00 00008014
	ds_write_b64 v20, v[130:131] offset:24832                  // 00000000A778: D89A6100 00008214
	ds_write_b64 v20, v[132:133] offset:25344                  // 00000000A780: D89A6300 00008414
	ds_write_b64 v20, v[134:135] offset:25856                  // 00000000A788: D89A6500 00008614
	s_waitcnt lgkmcnt(0)                                       // 00000000A790: BF8CC07F
	s_barrier                                                  // 00000000A794: BF8A0000
	ds_read_b64 v[136:137], v19 offset:24320                   // 00000000A798: D8EC5F00 88000013
	ds_read_b64 v[138:139], v19 offset:26368                   // 00000000A7A0: D8EC6700 8A000013
	ds_read_b64 v[140:141], v19 offset:28416                   // 00000000A7A8: D8EC6F00 8C000013
	ds_read_b64 v[142:143], v19 offset:30464                   // 00000000A7B0: D8EC7700 8E000013
	s_waitcnt lgkmcnt(0)                                       // 00000000A7B8: BF8CC07F
	s_barrier                                                  // 00000000A7BC: BF8A0000
	buffer_atomic_add_f32 v136, v7, s[32:35], 0 offen          // 00000000A7C0: E1341000 80088807
	buffer_atomic_add_f32 v137, v8, s[32:35], 0 offen          // 00000000A7C8: E1341000 80088908
	buffer_atomic_add_f32 v138, v7, s[32:35], 0 offen offset:128// 00000000A7D0: E1341080 80088A07
	buffer_atomic_add_f32 v139, v8, s[32:35], 0 offen offset:128// 00000000A7D8: E1341080 80088B08
	buffer_atomic_add_f32 v140, v7, s[32:35], 0 offen offset:256// 00000000A7E0: E1341100 80088C07
	buffer_atomic_add_f32 v141, v8, s[32:35], 0 offen offset:256// 00000000A7E8: E1341100 80088D08
	buffer_atomic_add_f32 v142, v7, s[32:35], 0 offen offset:384// 00000000A7F0: E1341180 80088E07
	buffer_atomic_add_f32 v143, v8, s[32:35], 0 offen offset:384// 00000000A7F8: E1341180 80088F08
	v_lshrrev_b32_e32 v28, 4, v0                               // 00000000A800: 20380084
	v_mul_i32_i24_e32 v24, 2, v28                              // 00000000A804: 0C303882
	v_and_b32_e32 v28, 15, v0                                  // 00000000A808: 2638008F
	v_mul_i32_i24_e32 v29, 0x42, v28                           // 00000000A80C: 0C3A38FF 00000042
	v_add_u32_e32 v24, v29, v24                                // 00000000A814: 6830311D
	s_mul_i32 s60, s46, 0x420                                  // 00000000A818: 923CFF2E 00000420
	v_add_u32_e32 v24, s60, v24                                // 00000000A820: 6830303C
	v_lshlrev_b32_e32 v24, 2, v24                              // 00000000A824: 24303082
	v_and_b32_e32 v28, 15, v0                                  // 00000000A828: 2638008F
	v_mov_b32_e32 v29, s50                                     // 00000000A82C: 7E3A0232
	v_lshrrev_b32_e32 v29, 3, v29                              // 00000000A830: 203A3A83
	v_cmp_lt_u32_e64 s[82:83], v28, v29                        // 00000000A834: D0C90052 00023B1C
	v_accvgpr_read_b32 v30, a160                               // 00000000A83C: D3D8401E 180001A0
	v_accvgpr_read_b32 v31, a161                               // 00000000A844: D3D8401F 180001A1
	v_mul_f32_e32 v30, s47, v30                                // 00000000A84C: 0A3C3C2F
	v_mul_f32_e32 v31, s47, v31                                // 00000000A850: 0A3E3E2F
	v_cmp_u_f32_e64 s[78:79], v30, v30                         // 00000000A854: D048004E 00023D1E
	v_bfe_u32 v248, v30, 16, 1                                 // 00000000A85C: D1C800F8 0205211E
	v_add3_u32 v248, v30, v248, v251                           // 00000000A864: D1FF00F8 07EFF11E
	v_cndmask_b32_e64 v28, v248, v250, s[78:79]                // 00000000A86C: D100001C 013BF5F8
	v_lshrrev_b32_e32 v28, 16, v28                             // 00000000A874: 20383890
	v_cmp_u_f32_e64 s[78:79], v31, v31                         // 00000000A878: D048004E 00023F1F
	v_bfe_u32 v248, v31, 16, 1                                 // 00000000A880: D1C800F8 0205211F
	v_add3_u32 v248, v31, v248, v251                           // 00000000A888: D1FF00F8 07EFF11F
	v_cndmask_b32_e64 v29, v248, v250, s[78:79]                // 00000000A890: D100001D 013BF5F8
	v_and_or_b32 v48, v29, v249, v28                           // 00000000A898: D2010030 0473F31D
	v_accvgpr_read_b32 v30, a162                               // 00000000A8A0: D3D8401E 180001A2
	v_accvgpr_read_b32 v31, a163                               // 00000000A8A8: D3D8401F 180001A3
	v_mul_f32_e32 v30, s47, v30                                // 00000000A8B0: 0A3C3C2F
	v_mul_f32_e32 v31, s47, v31                                // 00000000A8B4: 0A3E3E2F
	v_cmp_u_f32_e64 s[78:79], v30, v30                         // 00000000A8B8: D048004E 00023D1E
	v_bfe_u32 v248, v30, 16, 1                                 // 00000000A8C0: D1C800F8 0205211E
	v_add3_u32 v248, v30, v248, v251                           // 00000000A8C8: D1FF00F8 07EFF11E
	v_cndmask_b32_e64 v28, v248, v250, s[78:79]                // 00000000A8D0: D100001C 013BF5F8
	v_lshrrev_b32_e32 v28, 16, v28                             // 00000000A8D8: 20383890
	v_cmp_u_f32_e64 s[78:79], v31, v31                         // 00000000A8DC: D048004E 00023F1F
	v_bfe_u32 v248, v31, 16, 1                                 // 00000000A8E4: D1C800F8 0205211F
	v_add3_u32 v248, v31, v248, v251                           // 00000000A8EC: D1FF00F8 07EFF11F
	v_cndmask_b32_e64 v29, v248, v250, s[78:79]                // 00000000A8F4: D100001D 013BF5F8
	v_and_or_b32 v49, v29, v249, v28                           // 00000000A8FC: D2010031 0473F31D
	v_accvgpr_read_b32 v30, a164                               // 00000000A904: D3D8401E 180001A4
	v_accvgpr_read_b32 v31, a165                               // 00000000A90C: D3D8401F 180001A5
	v_mul_f32_e32 v30, s47, v30                                // 00000000A914: 0A3C3C2F
	v_mul_f32_e32 v31, s47, v31                                // 00000000A918: 0A3E3E2F
	v_cmp_u_f32_e64 s[78:79], v30, v30                         // 00000000A91C: D048004E 00023D1E
	v_bfe_u32 v248, v30, 16, 1                                 // 00000000A924: D1C800F8 0205211E
	v_add3_u32 v248, v30, v248, v251                           // 00000000A92C: D1FF00F8 07EFF11E
	v_cndmask_b32_e64 v28, v248, v250, s[78:79]                // 00000000A934: D100001C 013BF5F8
	v_lshrrev_b32_e32 v28, 16, v28                             // 00000000A93C: 20383890
	v_cmp_u_f32_e64 s[78:79], v31, v31                         // 00000000A940: D048004E 00023F1F
	v_bfe_u32 v248, v31, 16, 1                                 // 00000000A948: D1C800F8 0205211F
	v_add3_u32 v248, v31, v248, v251                           // 00000000A950: D1FF00F8 07EFF11F
	v_cndmask_b32_e64 v29, v248, v250, s[78:79]                // 00000000A958: D100001D 013BF5F8
	v_and_or_b32 v50, v29, v249, v28                           // 00000000A960: D2010032 0473F31D
	v_accvgpr_read_b32 v30, a166                               // 00000000A968: D3D8401E 180001A6
	v_accvgpr_read_b32 v31, a167                               // 00000000A970: D3D8401F 180001A7
	v_mul_f32_e32 v30, s47, v30                                // 00000000A978: 0A3C3C2F
	v_mul_f32_e32 v31, s47, v31                                // 00000000A97C: 0A3E3E2F
	v_cmp_u_f32_e64 s[78:79], v30, v30                         // 00000000A980: D048004E 00023D1E
	v_bfe_u32 v248, v30, 16, 1                                 // 00000000A988: D1C800F8 0205211E
	v_add3_u32 v248, v30, v248, v251                           // 00000000A990: D1FF00F8 07EFF11E
	v_cndmask_b32_e64 v28, v248, v250, s[78:79]                // 00000000A998: D100001C 013BF5F8
	v_lshrrev_b32_e32 v28, 16, v28                             // 00000000A9A0: 20383890
	v_cmp_u_f32_e64 s[78:79], v31, v31                         // 00000000A9A4: D048004E 00023F1F
	v_bfe_u32 v248, v31, 16, 1                                 // 00000000A9AC: D1C800F8 0205211F
	v_add3_u32 v248, v31, v248, v251                           // 00000000A9B4: D1FF00F8 07EFF11F
	v_cndmask_b32_e64 v29, v248, v250, s[78:79]                // 00000000A9BC: D100001D 013BF5F8
	v_and_or_b32 v51, v29, v249, v28                           // 00000000A9C4: D2010033 0473F31D
	v_accvgpr_read_b32 v30, a168                               // 00000000A9CC: D3D8401E 180001A8
	v_accvgpr_read_b32 v31, a169                               // 00000000A9D4: D3D8401F 180001A9
	v_mul_f32_e32 v30, s47, v30                                // 00000000A9DC: 0A3C3C2F
	v_mul_f32_e32 v31, s47, v31                                // 00000000A9E0: 0A3E3E2F
	v_cmp_u_f32_e64 s[78:79], v30, v30                         // 00000000A9E4: D048004E 00023D1E
	v_bfe_u32 v248, v30, 16, 1                                 // 00000000A9EC: D1C800F8 0205211E
	v_add3_u32 v248, v30, v248, v251                           // 00000000A9F4: D1FF00F8 07EFF11E
	v_cndmask_b32_e64 v28, v248, v250, s[78:79]                // 00000000A9FC: D100001C 013BF5F8
	v_lshrrev_b32_e32 v28, 16, v28                             // 00000000AA04: 20383890
	v_cmp_u_f32_e64 s[78:79], v31, v31                         // 00000000AA08: D048004E 00023F1F
	v_bfe_u32 v248, v31, 16, 1                                 // 00000000AA10: D1C800F8 0205211F
	v_add3_u32 v248, v31, v248, v251                           // 00000000AA18: D1FF00F8 07EFF11F
	v_cndmask_b32_e64 v29, v248, v250, s[78:79]                // 00000000AA20: D100001D 013BF5F8
	v_and_or_b32 v52, v29, v249, v28                           // 00000000AA28: D2010034 0473F31D
	v_accvgpr_read_b32 v30, a170                               // 00000000AA30: D3D8401E 180001AA
	v_accvgpr_read_b32 v31, a171                               // 00000000AA38: D3D8401F 180001AB
	v_mul_f32_e32 v30, s47, v30                                // 00000000AA40: 0A3C3C2F
	v_mul_f32_e32 v31, s47, v31                                // 00000000AA44: 0A3E3E2F
	v_cmp_u_f32_e64 s[78:79], v30, v30                         // 00000000AA48: D048004E 00023D1E
	v_bfe_u32 v248, v30, 16, 1                                 // 00000000AA50: D1C800F8 0205211E
	v_add3_u32 v248, v30, v248, v251                           // 00000000AA58: D1FF00F8 07EFF11E
	v_cndmask_b32_e64 v28, v248, v250, s[78:79]                // 00000000AA60: D100001C 013BF5F8
	v_lshrrev_b32_e32 v28, 16, v28                             // 00000000AA68: 20383890
	v_cmp_u_f32_e64 s[78:79], v31, v31                         // 00000000AA6C: D048004E 00023F1F
	v_bfe_u32 v248, v31, 16, 1                                 // 00000000AA74: D1C800F8 0205211F
	v_add3_u32 v248, v31, v248, v251                           // 00000000AA7C: D1FF00F8 07EFF11F
	v_cndmask_b32_e64 v29, v248, v250, s[78:79]                // 00000000AA84: D100001D 013BF5F8
	v_and_or_b32 v53, v29, v249, v28                           // 00000000AA8C: D2010035 0473F31D
	v_accvgpr_read_b32 v30, a172                               // 00000000AA94: D3D8401E 180001AC
	v_accvgpr_read_b32 v31, a173                               // 00000000AA9C: D3D8401F 180001AD
	v_mul_f32_e32 v30, s47, v30                                // 00000000AAA4: 0A3C3C2F
	v_mul_f32_e32 v31, s47, v31                                // 00000000AAA8: 0A3E3E2F
	v_cmp_u_f32_e64 s[78:79], v30, v30                         // 00000000AAAC: D048004E 00023D1E
	v_bfe_u32 v248, v30, 16, 1                                 // 00000000AAB4: D1C800F8 0205211E
	v_add3_u32 v248, v30, v248, v251                           // 00000000AABC: D1FF00F8 07EFF11E
	v_cndmask_b32_e64 v28, v248, v250, s[78:79]                // 00000000AAC4: D100001C 013BF5F8
	v_lshrrev_b32_e32 v28, 16, v28                             // 00000000AACC: 20383890
	v_cmp_u_f32_e64 s[78:79], v31, v31                         // 00000000AAD0: D048004E 00023F1F
	v_bfe_u32 v248, v31, 16, 1                                 // 00000000AAD8: D1C800F8 0205211F
	v_add3_u32 v248, v31, v248, v251                           // 00000000AAE0: D1FF00F8 07EFF11F
	v_cndmask_b32_e64 v29, v248, v250, s[78:79]                // 00000000AAE8: D100001D 013BF5F8
	v_and_or_b32 v54, v29, v249, v28                           // 00000000AAF0: D2010036 0473F31D
	v_accvgpr_read_b32 v30, a174                               // 00000000AAF8: D3D8401E 180001AE
	v_accvgpr_read_b32 v31, a175                               // 00000000AB00: D3D8401F 180001AF
	v_mul_f32_e32 v30, s47, v30                                // 00000000AB08: 0A3C3C2F
	v_mul_f32_e32 v31, s47, v31                                // 00000000AB0C: 0A3E3E2F
	v_cmp_u_f32_e64 s[78:79], v30, v30                         // 00000000AB10: D048004E 00023D1E
	v_bfe_u32 v248, v30, 16, 1                                 // 00000000AB18: D1C800F8 0205211E
	v_add3_u32 v248, v30, v248, v251                           // 00000000AB20: D1FF00F8 07EFF11E
	v_cndmask_b32_e64 v28, v248, v250, s[78:79]                // 00000000AB28: D100001C 013BF5F8
	v_lshrrev_b32_e32 v28, 16, v28                             // 00000000AB30: 20383890
	v_cmp_u_f32_e64 s[78:79], v31, v31                         // 00000000AB34: D048004E 00023F1F
	v_bfe_u32 v248, v31, 16, 1                                 // 00000000AB3C: D1C800F8 0205211F
	v_add3_u32 v248, v31, v248, v251                           // 00000000AB44: D1FF00F8 07EFF11F
	v_cndmask_b32_e64 v29, v248, v250, s[78:79]                // 00000000AB4C: D100001D 013BF5F8
	v_and_or_b32 v55, v29, v249, v28                           // 00000000AB54: D2010037 0473F31D
	v_accvgpr_read_b32 v30, a176                               // 00000000AB5C: D3D8401E 180001B0
	v_accvgpr_read_b32 v31, a177                               // 00000000AB64: D3D8401F 180001B1
	v_mul_f32_e32 v30, s47, v30                                // 00000000AB6C: 0A3C3C2F
	v_mul_f32_e32 v31, s47, v31                                // 00000000AB70: 0A3E3E2F
	v_cmp_u_f32_e64 s[78:79], v30, v30                         // 00000000AB74: D048004E 00023D1E
	v_bfe_u32 v248, v30, 16, 1                                 // 00000000AB7C: D1C800F8 0205211E
	v_add3_u32 v248, v30, v248, v251                           // 00000000AB84: D1FF00F8 07EFF11E
	v_cndmask_b32_e64 v28, v248, v250, s[78:79]                // 00000000AB8C: D100001C 013BF5F8
	v_lshrrev_b32_e32 v28, 16, v28                             // 00000000AB94: 20383890
	v_cmp_u_f32_e64 s[78:79], v31, v31                         // 00000000AB98: D048004E 00023F1F
	v_bfe_u32 v248, v31, 16, 1                                 // 00000000ABA0: D1C800F8 0205211F
	v_add3_u32 v248, v31, v248, v251                           // 00000000ABA8: D1FF00F8 07EFF11F
	v_cndmask_b32_e64 v29, v248, v250, s[78:79]                // 00000000ABB0: D100001D 013BF5F8
	v_and_or_b32 v56, v29, v249, v28                           // 00000000ABB8: D2010038 0473F31D
	v_accvgpr_read_b32 v30, a178                               // 00000000ABC0: D3D8401E 180001B2
	v_accvgpr_read_b32 v31, a179                               // 00000000ABC8: D3D8401F 180001B3
	v_mul_f32_e32 v30, s47, v30                                // 00000000ABD0: 0A3C3C2F
	v_mul_f32_e32 v31, s47, v31                                // 00000000ABD4: 0A3E3E2F
	v_cmp_u_f32_e64 s[78:79], v30, v30                         // 00000000ABD8: D048004E 00023D1E
	v_bfe_u32 v248, v30, 16, 1                                 // 00000000ABE0: D1C800F8 0205211E
	v_add3_u32 v248, v30, v248, v251                           // 00000000ABE8: D1FF00F8 07EFF11E
	v_cndmask_b32_e64 v28, v248, v250, s[78:79]                // 00000000ABF0: D100001C 013BF5F8
	v_lshrrev_b32_e32 v28, 16, v28                             // 00000000ABF8: 20383890
	v_cmp_u_f32_e64 s[78:79], v31, v31                         // 00000000ABFC: D048004E 00023F1F
	v_bfe_u32 v248, v31, 16, 1                                 // 00000000AC04: D1C800F8 0205211F
	v_add3_u32 v248, v31, v248, v251                           // 00000000AC0C: D1FF00F8 07EFF11F
	v_cndmask_b32_e64 v29, v248, v250, s[78:79]                // 00000000AC14: D100001D 013BF5F8
	v_and_or_b32 v57, v29, v249, v28                           // 00000000AC1C: D2010039 0473F31D
	v_accvgpr_read_b32 v30, a180                               // 00000000AC24: D3D8401E 180001B4
	v_accvgpr_read_b32 v31, a181                               // 00000000AC2C: D3D8401F 180001B5
	v_mul_f32_e32 v30, s47, v30                                // 00000000AC34: 0A3C3C2F
	v_mul_f32_e32 v31, s47, v31                                // 00000000AC38: 0A3E3E2F
	v_cmp_u_f32_e64 s[78:79], v30, v30                         // 00000000AC3C: D048004E 00023D1E
	v_bfe_u32 v248, v30, 16, 1                                 // 00000000AC44: D1C800F8 0205211E
	v_add3_u32 v248, v30, v248, v251                           // 00000000AC4C: D1FF00F8 07EFF11E
	v_cndmask_b32_e64 v28, v248, v250, s[78:79]                // 00000000AC54: D100001C 013BF5F8
	v_lshrrev_b32_e32 v28, 16, v28                             // 00000000AC5C: 20383890
	v_cmp_u_f32_e64 s[78:79], v31, v31                         // 00000000AC60: D048004E 00023F1F
	v_bfe_u32 v248, v31, 16, 1                                 // 00000000AC68: D1C800F8 0205211F
	v_add3_u32 v248, v31, v248, v251                           // 00000000AC70: D1FF00F8 07EFF11F
	v_cndmask_b32_e64 v29, v248, v250, s[78:79]                // 00000000AC78: D100001D 013BF5F8
	v_and_or_b32 v58, v29, v249, v28                           // 00000000AC80: D201003A 0473F31D
	v_accvgpr_read_b32 v30, a182                               // 00000000AC88: D3D8401E 180001B6
	v_accvgpr_read_b32 v31, a183                               // 00000000AC90: D3D8401F 180001B7
	v_mul_f32_e32 v30, s47, v30                                // 00000000AC98: 0A3C3C2F
	v_mul_f32_e32 v31, s47, v31                                // 00000000AC9C: 0A3E3E2F
	v_cmp_u_f32_e64 s[78:79], v30, v30                         // 00000000ACA0: D048004E 00023D1E
	v_bfe_u32 v248, v30, 16, 1                                 // 00000000ACA8: D1C800F8 0205211E
	v_add3_u32 v248, v30, v248, v251                           // 00000000ACB0: D1FF00F8 07EFF11E
	v_cndmask_b32_e64 v28, v248, v250, s[78:79]                // 00000000ACB8: D100001C 013BF5F8
	v_lshrrev_b32_e32 v28, 16, v28                             // 00000000ACC0: 20383890
	v_cmp_u_f32_e64 s[78:79], v31, v31                         // 00000000ACC4: D048004E 00023F1F
	v_bfe_u32 v248, v31, 16, 1                                 // 00000000ACCC: D1C800F8 0205211F
	v_add3_u32 v248, v31, v248, v251                           // 00000000ACD4: D1FF00F8 07EFF11F
	v_cndmask_b32_e64 v29, v248, v250, s[78:79]                // 00000000ACDC: D100001D 013BF5F8
	v_and_or_b32 v59, v29, v249, v28                           // 00000000ACE4: D201003B 0473F31D
	v_accvgpr_read_b32 v30, a184                               // 00000000ACEC: D3D8401E 180001B8
	v_accvgpr_read_b32 v31, a185                               // 00000000ACF4: D3D8401F 180001B9
	v_mul_f32_e32 v30, s47, v30                                // 00000000ACFC: 0A3C3C2F
	v_mul_f32_e32 v31, s47, v31                                // 00000000AD00: 0A3E3E2F
	v_cmp_u_f32_e64 s[78:79], v30, v30                         // 00000000AD04: D048004E 00023D1E
	v_bfe_u32 v248, v30, 16, 1                                 // 00000000AD0C: D1C800F8 0205211E
	v_add3_u32 v248, v30, v248, v251                           // 00000000AD14: D1FF00F8 07EFF11E
	v_cndmask_b32_e64 v28, v248, v250, s[78:79]                // 00000000AD1C: D100001C 013BF5F8
	v_lshrrev_b32_e32 v28, 16, v28                             // 00000000AD24: 20383890
	v_cmp_u_f32_e64 s[78:79], v31, v31                         // 00000000AD28: D048004E 00023F1F
	v_bfe_u32 v248, v31, 16, 1                                 // 00000000AD30: D1C800F8 0205211F
	v_add3_u32 v248, v31, v248, v251                           // 00000000AD38: D1FF00F8 07EFF11F
	v_cndmask_b32_e64 v29, v248, v250, s[78:79]                // 00000000AD40: D100001D 013BF5F8
	v_and_or_b32 v60, v29, v249, v28                           // 00000000AD48: D201003C 0473F31D
	v_accvgpr_read_b32 v30, a186                               // 00000000AD50: D3D8401E 180001BA
	v_accvgpr_read_b32 v31, a187                               // 00000000AD58: D3D8401F 180001BB
	v_mul_f32_e32 v30, s47, v30                                // 00000000AD60: 0A3C3C2F
	v_mul_f32_e32 v31, s47, v31                                // 00000000AD64: 0A3E3E2F
	v_cmp_u_f32_e64 s[78:79], v30, v30                         // 00000000AD68: D048004E 00023D1E
	v_bfe_u32 v248, v30, 16, 1                                 // 00000000AD70: D1C800F8 0205211E
	v_add3_u32 v248, v30, v248, v251                           // 00000000AD78: D1FF00F8 07EFF11E
	v_cndmask_b32_e64 v28, v248, v250, s[78:79]                // 00000000AD80: D100001C 013BF5F8
	v_lshrrev_b32_e32 v28, 16, v28                             // 00000000AD88: 20383890
	v_cmp_u_f32_e64 s[78:79], v31, v31                         // 00000000AD8C: D048004E 00023F1F
	v_bfe_u32 v248, v31, 16, 1                                 // 00000000AD94: D1C800F8 0205211F
	v_add3_u32 v248, v31, v248, v251                           // 00000000AD9C: D1FF00F8 07EFF11F
	v_cndmask_b32_e64 v29, v248, v250, s[78:79]                // 00000000ADA4: D100001D 013BF5F8
	v_and_or_b32 v61, v29, v249, v28                           // 00000000ADAC: D201003D 0473F31D
	v_accvgpr_read_b32 v30, a188                               // 00000000ADB4: D3D8401E 180001BC
	v_accvgpr_read_b32 v31, a189                               // 00000000ADBC: D3D8401F 180001BD
	v_mul_f32_e32 v30, s47, v30                                // 00000000ADC4: 0A3C3C2F
	v_mul_f32_e32 v31, s47, v31                                // 00000000ADC8: 0A3E3E2F
	v_cmp_u_f32_e64 s[78:79], v30, v30                         // 00000000ADCC: D048004E 00023D1E
	v_bfe_u32 v248, v30, 16, 1                                 // 00000000ADD4: D1C800F8 0205211E
	v_add3_u32 v248, v30, v248, v251                           // 00000000ADDC: D1FF00F8 07EFF11E
	v_cndmask_b32_e64 v28, v248, v250, s[78:79]                // 00000000ADE4: D100001C 013BF5F8
	v_lshrrev_b32_e32 v28, 16, v28                             // 00000000ADEC: 20383890
	v_cmp_u_f32_e64 s[78:79], v31, v31                         // 00000000ADF0: D048004E 00023F1F
	v_bfe_u32 v248, v31, 16, 1                                 // 00000000ADF8: D1C800F8 0205211F
	v_add3_u32 v248, v31, v248, v251                           // 00000000AE00: D1FF00F8 07EFF11F
	v_cndmask_b32_e64 v29, v248, v250, s[78:79]                // 00000000AE08: D100001D 013BF5F8
	v_and_or_b32 v62, v29, v249, v28                           // 00000000AE10: D201003E 0473F31D
	v_accvgpr_read_b32 v30, a190                               // 00000000AE18: D3D8401E 180001BE
	v_accvgpr_read_b32 v31, a191                               // 00000000AE20: D3D8401F 180001BF
	v_mul_f32_e32 v30, s47, v30                                // 00000000AE28: 0A3C3C2F
	v_mul_f32_e32 v31, s47, v31                                // 00000000AE2C: 0A3E3E2F
	v_cmp_u_f32_e64 s[78:79], v30, v30                         // 00000000AE30: D048004E 00023D1E
	v_bfe_u32 v248, v30, 16, 1                                 // 00000000AE38: D1C800F8 0205211E
	v_add3_u32 v248, v30, v248, v251                           // 00000000AE40: D1FF00F8 07EFF11E
	v_cndmask_b32_e64 v28, v248, v250, s[78:79]                // 00000000AE48: D100001C 013BF5F8
	v_lshrrev_b32_e32 v28, 16, v28                             // 00000000AE50: 20383890
	v_cmp_u_f32_e64 s[78:79], v31, v31                         // 00000000AE54: D048004E 00023F1F
	v_bfe_u32 v248, v31, 16, 1                                 // 00000000AE5C: D1C800F8 0205211F
	v_add3_u32 v248, v31, v248, v251                           // 00000000AE64: D1FF00F8 07EFF11F
	v_cndmask_b32_e64 v29, v248, v250, s[78:79]                // 00000000AE6C: D100001D 013BF5F8
	v_and_or_b32 v63, v29, v249, v28                           // 00000000AE74: D201003F 0473F31D
	ds_write_b64 v25, v[48:49]                                 // 00000000AE7C: D89A0000 00003019
	ds_write_b64 v25, v[50:51] offset:528                      // 00000000AE84: D89A0210 00003219
	ds_write_b64 v25, v[52:53] offset:1056                     // 00000000AE8C: D89A0420 00003419
	ds_write_b64 v25, v[54:55] offset:1584                     // 00000000AE94: D89A0630 00003619
	ds_write_b64 v25, v[56:57] offset:2112                     // 00000000AE9C: D89A0840 00003819
	ds_write_b64 v25, v[58:59] offset:2640                     // 00000000AEA4: D89A0A50 00003A19
	ds_write_b64 v25, v[60:61] offset:3168                     // 00000000AEAC: D89A0C60 00003C19
	ds_write_b64 v25, v[62:63] offset:3696                     // 00000000AEB4: D89A0E70 00003E19
	s_waitcnt lgkmcnt(0)                                       // 00000000AEBC: BF8CC07F
	s_barrier                                                  // 00000000AEC0: BF8A0000
	ds_read_b64 v[48:49], v24                                  // 00000000AEC4: D8EC0000 30000018
	ds_read_b64 v[50:51], v24 offset:128                       // 00000000AECC: D8EC0080 32000018
	ds_read_b64 v[52:53], v24 offset:32                        // 00000000AED4: D8EC0020 34000018
	ds_read_b64 v[54:55], v24 offset:160                       // 00000000AEDC: D8EC00A0 36000018
	ds_read_b64 v[56:57], v24 offset:64                        // 00000000AEE4: D8EC0040 38000018
	ds_read_b64 v[58:59], v24 offset:192                       // 00000000AEEC: D8EC00C0 3A000018
	ds_read_b64 v[60:61], v24 offset:96                        // 00000000AEF4: D8EC0060 3C000018
	ds_read_b64 v[62:63], v24 offset:224                       // 00000000AEFC: D8EC00E0 3E000018
	s_waitcnt lgkmcnt(0)                                       // 00000000AF04: BF8CC07F
	s_mov_b32 s70, s52                                         // 00000000AF08: BEC60034
	s_mov_b64 exec, s[82:83]                                   // 00000000AF0C: BEFE0152
	buffer_store_dwordx4 v[48:51], v5, s[36:39], 0 idxen       // 00000000AF10: E07C2000 80093005
	s_mov_b32 exec_lo, -1                                      // 00000000AF18: BEFE00C1
	s_mov_b32 exec_hi, -1                                      // 00000000AF1C: BEFF00C1
	v_add_u32_e32 v5, s70, v5                                  // 00000000AF20: 680A0A46
	s_mov_b64 exec, s[82:83]                                   // 00000000AF24: BEFE0152
	buffer_store_dwordx4 v[52:55], v5, s[36:39], 0 idxen       // 00000000AF28: E07C2000 80093405
	s_mov_b32 exec_lo, -1                                      // 00000000AF30: BEFE00C1
	s_mov_b32 exec_hi, -1                                      // 00000000AF34: BEFF00C1
	v_add_u32_e32 v5, s70, v5                                  // 00000000AF38: 680A0A46
	s_mov_b64 exec, s[82:83]                                   // 00000000AF3C: BEFE0152
	buffer_store_dwordx4 v[56:59], v5, s[36:39], 0 idxen       // 00000000AF40: E07C2000 80093805
	s_mov_b32 exec_lo, -1                                      // 00000000AF48: BEFE00C1
	s_mov_b32 exec_hi, -1                                      // 00000000AF4C: BEFF00C1
	v_add_u32_e32 v5, s70, v5                                  // 00000000AF50: 680A0A46
	s_mov_b64 exec, s[82:83]                                   // 00000000AF54: BEFE0152
	buffer_store_dwordx4 v[60:63], v5, s[36:39], 0 idxen       // 00000000AF58: E07C2000 80093C05
	s_mov_b32 exec_lo, -1                                      // 00000000AF60: BEFE00C1
	s_mov_b32 exec_hi, -1                                      // 00000000AF64: BEFF00C1
	v_add_u32_e32 v5, s70, v5                                  // 00000000AF68: 680A0A46
	s_mul_i32 s60, 12, s70                                     // 00000000AF6C: 923C468C
	v_add_u32_e32 v5, s60, v5                                  // 00000000AF70: 680A0A3C
	s_barrier                                                  // 00000000AF74: BF8A0000
	s_cmp_ge_i32 1, s72                                        // 00000000AF78: BF034881
	s_cbranch_scc1 label_2016                                  // 00000000AF7C: BF8503A2
	v_accvgpr_read_b32 v30, a192                               // 00000000AF80: D3D8401E 180001C0
	v_accvgpr_read_b32 v31, a193                               // 00000000AF88: D3D8401F 180001C1
	v_mul_f32_e32 v30, s47, v30                                // 00000000AF90: 0A3C3C2F
	v_mul_f32_e32 v31, s47, v31                                // 00000000AF94: 0A3E3E2F
	v_cmp_u_f32_e64 s[78:79], v30, v30                         // 00000000AF98: D048004E 00023D1E
	v_bfe_u32 v248, v30, 16, 1                                 // 00000000AFA0: D1C800F8 0205211E
	v_add3_u32 v248, v30, v248, v251                           // 00000000AFA8: D1FF00F8 07EFF11E
	v_cndmask_b32_e64 v28, v248, v250, s[78:79]                // 00000000AFB0: D100001C 013BF5F8
	v_lshrrev_b32_e32 v28, 16, v28                             // 00000000AFB8: 20383890
	v_cmp_u_f32_e64 s[78:79], v31, v31                         // 00000000AFBC: D048004E 00023F1F
	v_bfe_u32 v248, v31, 16, 1                                 // 00000000AFC4: D1C800F8 0205211F
	v_add3_u32 v248, v31, v248, v251                           // 00000000AFCC: D1FF00F8 07EFF11F
	v_cndmask_b32_e64 v29, v248, v250, s[78:79]                // 00000000AFD4: D100001D 013BF5F8
	v_and_or_b32 v64, v29, v249, v28                           // 00000000AFDC: D2010040 0473F31D
	v_accvgpr_read_b32 v30, a194                               // 00000000AFE4: D3D8401E 180001C2
	v_accvgpr_read_b32 v31, a195                               // 00000000AFEC: D3D8401F 180001C3
	v_mul_f32_e32 v30, s47, v30                                // 00000000AFF4: 0A3C3C2F
	v_mul_f32_e32 v31, s47, v31                                // 00000000AFF8: 0A3E3E2F
	v_cmp_u_f32_e64 s[78:79], v30, v30                         // 00000000AFFC: D048004E 00023D1E
	v_bfe_u32 v248, v30, 16, 1                                 // 00000000B004: D1C800F8 0205211E
	v_add3_u32 v248, v30, v248, v251                           // 00000000B00C: D1FF00F8 07EFF11E
	v_cndmask_b32_e64 v28, v248, v250, s[78:79]                // 00000000B014: D100001C 013BF5F8
	v_lshrrev_b32_e32 v28, 16, v28                             // 00000000B01C: 20383890
	v_cmp_u_f32_e64 s[78:79], v31, v31                         // 00000000B020: D048004E 00023F1F
	v_bfe_u32 v248, v31, 16, 1                                 // 00000000B028: D1C800F8 0205211F
	v_add3_u32 v248, v31, v248, v251                           // 00000000B030: D1FF00F8 07EFF11F
	v_cndmask_b32_e64 v29, v248, v250, s[78:79]                // 00000000B038: D100001D 013BF5F8
	v_and_or_b32 v65, v29, v249, v28                           // 00000000B040: D2010041 0473F31D
	v_accvgpr_read_b32 v30, a196                               // 00000000B048: D3D8401E 180001C4
	v_accvgpr_read_b32 v31, a197                               // 00000000B050: D3D8401F 180001C5
	v_mul_f32_e32 v30, s47, v30                                // 00000000B058: 0A3C3C2F
	v_mul_f32_e32 v31, s47, v31                                // 00000000B05C: 0A3E3E2F
	v_cmp_u_f32_e64 s[78:79], v30, v30                         // 00000000B060: D048004E 00023D1E
	v_bfe_u32 v248, v30, 16, 1                                 // 00000000B068: D1C800F8 0205211E
	v_add3_u32 v248, v30, v248, v251                           // 00000000B070: D1FF00F8 07EFF11E
	v_cndmask_b32_e64 v28, v248, v250, s[78:79]                // 00000000B078: D100001C 013BF5F8
	v_lshrrev_b32_e32 v28, 16, v28                             // 00000000B080: 20383890
	v_cmp_u_f32_e64 s[78:79], v31, v31                         // 00000000B084: D048004E 00023F1F
	v_bfe_u32 v248, v31, 16, 1                                 // 00000000B08C: D1C800F8 0205211F
	v_add3_u32 v248, v31, v248, v251                           // 00000000B094: D1FF00F8 07EFF11F
	v_cndmask_b32_e64 v29, v248, v250, s[78:79]                // 00000000B09C: D100001D 013BF5F8
	v_and_or_b32 v66, v29, v249, v28                           // 00000000B0A4: D2010042 0473F31D
	v_accvgpr_read_b32 v30, a198                               // 00000000B0AC: D3D8401E 180001C6
	v_accvgpr_read_b32 v31, a199                               // 00000000B0B4: D3D8401F 180001C7
	v_mul_f32_e32 v30, s47, v30                                // 00000000B0BC: 0A3C3C2F
	v_mul_f32_e32 v31, s47, v31                                // 00000000B0C0: 0A3E3E2F
	v_cmp_u_f32_e64 s[78:79], v30, v30                         // 00000000B0C4: D048004E 00023D1E
	v_bfe_u32 v248, v30, 16, 1                                 // 00000000B0CC: D1C800F8 0205211E
	v_add3_u32 v248, v30, v248, v251                           // 00000000B0D4: D1FF00F8 07EFF11E
	v_cndmask_b32_e64 v28, v248, v250, s[78:79]                // 00000000B0DC: D100001C 013BF5F8
	v_lshrrev_b32_e32 v28, 16, v28                             // 00000000B0E4: 20383890
	v_cmp_u_f32_e64 s[78:79], v31, v31                         // 00000000B0E8: D048004E 00023F1F
	v_bfe_u32 v248, v31, 16, 1                                 // 00000000B0F0: D1C800F8 0205211F
	v_add3_u32 v248, v31, v248, v251                           // 00000000B0F8: D1FF00F8 07EFF11F
	v_cndmask_b32_e64 v29, v248, v250, s[78:79]                // 00000000B100: D100001D 013BF5F8
	v_and_or_b32 v67, v29, v249, v28                           // 00000000B108: D2010043 0473F31D
	v_accvgpr_read_b32 v30, a200                               // 00000000B110: D3D8401E 180001C8
	v_accvgpr_read_b32 v31, a201                               // 00000000B118: D3D8401F 180001C9
	v_mul_f32_e32 v30, s47, v30                                // 00000000B120: 0A3C3C2F
	v_mul_f32_e32 v31, s47, v31                                // 00000000B124: 0A3E3E2F
	v_cmp_u_f32_e64 s[78:79], v30, v30                         // 00000000B128: D048004E 00023D1E
	v_bfe_u32 v248, v30, 16, 1                                 // 00000000B130: D1C800F8 0205211E
	v_add3_u32 v248, v30, v248, v251                           // 00000000B138: D1FF00F8 07EFF11E
	v_cndmask_b32_e64 v28, v248, v250, s[78:79]                // 00000000B140: D100001C 013BF5F8
	v_lshrrev_b32_e32 v28, 16, v28                             // 00000000B148: 20383890
	v_cmp_u_f32_e64 s[78:79], v31, v31                         // 00000000B14C: D048004E 00023F1F
	v_bfe_u32 v248, v31, 16, 1                                 // 00000000B154: D1C800F8 0205211F
	v_add3_u32 v248, v31, v248, v251                           // 00000000B15C: D1FF00F8 07EFF11F
	v_cndmask_b32_e64 v29, v248, v250, s[78:79]                // 00000000B164: D100001D 013BF5F8
	v_and_or_b32 v68, v29, v249, v28                           // 00000000B16C: D2010044 0473F31D
	v_accvgpr_read_b32 v30, a202                               // 00000000B174: D3D8401E 180001CA
	v_accvgpr_read_b32 v31, a203                               // 00000000B17C: D3D8401F 180001CB
	v_mul_f32_e32 v30, s47, v30                                // 00000000B184: 0A3C3C2F
	v_mul_f32_e32 v31, s47, v31                                // 00000000B188: 0A3E3E2F
	v_cmp_u_f32_e64 s[78:79], v30, v30                         // 00000000B18C: D048004E 00023D1E
	v_bfe_u32 v248, v30, 16, 1                                 // 00000000B194: D1C800F8 0205211E
	v_add3_u32 v248, v30, v248, v251                           // 00000000B19C: D1FF00F8 07EFF11E
	v_cndmask_b32_e64 v28, v248, v250, s[78:79]                // 00000000B1A4: D100001C 013BF5F8
	v_lshrrev_b32_e32 v28, 16, v28                             // 00000000B1AC: 20383890
	v_cmp_u_f32_e64 s[78:79], v31, v31                         // 00000000B1B0: D048004E 00023F1F
	v_bfe_u32 v248, v31, 16, 1                                 // 00000000B1B8: D1C800F8 0205211F
	v_add3_u32 v248, v31, v248, v251                           // 00000000B1C0: D1FF00F8 07EFF11F
	v_cndmask_b32_e64 v29, v248, v250, s[78:79]                // 00000000B1C8: D100001D 013BF5F8
	v_and_or_b32 v69, v29, v249, v28                           // 00000000B1D0: D2010045 0473F31D
	v_accvgpr_read_b32 v30, a204                               // 00000000B1D8: D3D8401E 180001CC
	v_accvgpr_read_b32 v31, a205                               // 00000000B1E0: D3D8401F 180001CD
	v_mul_f32_e32 v30, s47, v30                                // 00000000B1E8: 0A3C3C2F
	v_mul_f32_e32 v31, s47, v31                                // 00000000B1EC: 0A3E3E2F
	v_cmp_u_f32_e64 s[78:79], v30, v30                         // 00000000B1F0: D048004E 00023D1E
	v_bfe_u32 v248, v30, 16, 1                                 // 00000000B1F8: D1C800F8 0205211E
	v_add3_u32 v248, v30, v248, v251                           // 00000000B200: D1FF00F8 07EFF11E
	v_cndmask_b32_e64 v28, v248, v250, s[78:79]                // 00000000B208: D100001C 013BF5F8
	v_lshrrev_b32_e32 v28, 16, v28                             // 00000000B210: 20383890
	v_cmp_u_f32_e64 s[78:79], v31, v31                         // 00000000B214: D048004E 00023F1F
	v_bfe_u32 v248, v31, 16, 1                                 // 00000000B21C: D1C800F8 0205211F
	v_add3_u32 v248, v31, v248, v251                           // 00000000B224: D1FF00F8 07EFF11F
	v_cndmask_b32_e64 v29, v248, v250, s[78:79]                // 00000000B22C: D100001D 013BF5F8
	v_and_or_b32 v70, v29, v249, v28                           // 00000000B234: D2010046 0473F31D
	v_accvgpr_read_b32 v30, a206                               // 00000000B23C: D3D8401E 180001CE
	v_accvgpr_read_b32 v31, a207                               // 00000000B244: D3D8401F 180001CF
	v_mul_f32_e32 v30, s47, v30                                // 00000000B24C: 0A3C3C2F
	v_mul_f32_e32 v31, s47, v31                                // 00000000B250: 0A3E3E2F
	v_cmp_u_f32_e64 s[78:79], v30, v30                         // 00000000B254: D048004E 00023D1E
	v_bfe_u32 v248, v30, 16, 1                                 // 00000000B25C: D1C800F8 0205211E
	v_add3_u32 v248, v30, v248, v251                           // 00000000B264: D1FF00F8 07EFF11E
	v_cndmask_b32_e64 v28, v248, v250, s[78:79]                // 00000000B26C: D100001C 013BF5F8
	v_lshrrev_b32_e32 v28, 16, v28                             // 00000000B274: 20383890
	v_cmp_u_f32_e64 s[78:79], v31, v31                         // 00000000B278: D048004E 00023F1F
	v_bfe_u32 v248, v31, 16, 1                                 // 00000000B280: D1C800F8 0205211F
	v_add3_u32 v248, v31, v248, v251                           // 00000000B288: D1FF00F8 07EFF11F
	v_cndmask_b32_e64 v29, v248, v250, s[78:79]                // 00000000B290: D100001D 013BF5F8
	v_and_or_b32 v71, v29, v249, v28                           // 00000000B298: D2010047 0473F31D
	v_accvgpr_read_b32 v30, a208                               // 00000000B2A0: D3D8401E 180001D0
	v_accvgpr_read_b32 v31, a209                               // 00000000B2A8: D3D8401F 180001D1
	v_mul_f32_e32 v30, s47, v30                                // 00000000B2B0: 0A3C3C2F
	v_mul_f32_e32 v31, s47, v31                                // 00000000B2B4: 0A3E3E2F
	v_cmp_u_f32_e64 s[78:79], v30, v30                         // 00000000B2B8: D048004E 00023D1E
	v_bfe_u32 v248, v30, 16, 1                                 // 00000000B2C0: D1C800F8 0205211E
	v_add3_u32 v248, v30, v248, v251                           // 00000000B2C8: D1FF00F8 07EFF11E
	v_cndmask_b32_e64 v28, v248, v250, s[78:79]                // 00000000B2D0: D100001C 013BF5F8
	v_lshrrev_b32_e32 v28, 16, v28                             // 00000000B2D8: 20383890
	v_cmp_u_f32_e64 s[78:79], v31, v31                         // 00000000B2DC: D048004E 00023F1F
	v_bfe_u32 v248, v31, 16, 1                                 // 00000000B2E4: D1C800F8 0205211F
	v_add3_u32 v248, v31, v248, v251                           // 00000000B2EC: D1FF00F8 07EFF11F
	v_cndmask_b32_e64 v29, v248, v250, s[78:79]                // 00000000B2F4: D100001D 013BF5F8
	v_and_or_b32 v72, v29, v249, v28                           // 00000000B2FC: D2010048 0473F31D
	v_accvgpr_read_b32 v30, a210                               // 00000000B304: D3D8401E 180001D2
	v_accvgpr_read_b32 v31, a211                               // 00000000B30C: D3D8401F 180001D3
	v_mul_f32_e32 v30, s47, v30                                // 00000000B314: 0A3C3C2F
	v_mul_f32_e32 v31, s47, v31                                // 00000000B318: 0A3E3E2F
	v_cmp_u_f32_e64 s[78:79], v30, v30                         // 00000000B31C: D048004E 00023D1E
	v_bfe_u32 v248, v30, 16, 1                                 // 00000000B324: D1C800F8 0205211E
	v_add3_u32 v248, v30, v248, v251                           // 00000000B32C: D1FF00F8 07EFF11E
	v_cndmask_b32_e64 v28, v248, v250, s[78:79]                // 00000000B334: D100001C 013BF5F8
	v_lshrrev_b32_e32 v28, 16, v28                             // 00000000B33C: 20383890
	v_cmp_u_f32_e64 s[78:79], v31, v31                         // 00000000B340: D048004E 00023F1F
	v_bfe_u32 v248, v31, 16, 1                                 // 00000000B348: D1C800F8 0205211F
	v_add3_u32 v248, v31, v248, v251                           // 00000000B350: D1FF00F8 07EFF11F
	v_cndmask_b32_e64 v29, v248, v250, s[78:79]                // 00000000B358: D100001D 013BF5F8
	v_and_or_b32 v73, v29, v249, v28                           // 00000000B360: D2010049 0473F31D
	v_accvgpr_read_b32 v30, a212                               // 00000000B368: D3D8401E 180001D4
	v_accvgpr_read_b32 v31, a213                               // 00000000B370: D3D8401F 180001D5
	v_mul_f32_e32 v30, s47, v30                                // 00000000B378: 0A3C3C2F
	v_mul_f32_e32 v31, s47, v31                                // 00000000B37C: 0A3E3E2F
	v_cmp_u_f32_e64 s[78:79], v30, v30                         // 00000000B380: D048004E 00023D1E
	v_bfe_u32 v248, v30, 16, 1                                 // 00000000B388: D1C800F8 0205211E
	v_add3_u32 v248, v30, v248, v251                           // 00000000B390: D1FF00F8 07EFF11E
	v_cndmask_b32_e64 v28, v248, v250, s[78:79]                // 00000000B398: D100001C 013BF5F8
	v_lshrrev_b32_e32 v28, 16, v28                             // 00000000B3A0: 20383890
	v_cmp_u_f32_e64 s[78:79], v31, v31                         // 00000000B3A4: D048004E 00023F1F
	v_bfe_u32 v248, v31, 16, 1                                 // 00000000B3AC: D1C800F8 0205211F
	v_add3_u32 v248, v31, v248, v251                           // 00000000B3B4: D1FF00F8 07EFF11F
	v_cndmask_b32_e64 v29, v248, v250, s[78:79]                // 00000000B3BC: D100001D 013BF5F8
	v_and_or_b32 v74, v29, v249, v28                           // 00000000B3C4: D201004A 0473F31D
	v_accvgpr_read_b32 v30, a214                               // 00000000B3CC: D3D8401E 180001D6
	v_accvgpr_read_b32 v31, a215                               // 00000000B3D4: D3D8401F 180001D7
	v_mul_f32_e32 v30, s47, v30                                // 00000000B3DC: 0A3C3C2F
	v_mul_f32_e32 v31, s47, v31                                // 00000000B3E0: 0A3E3E2F
	v_cmp_u_f32_e64 s[78:79], v30, v30                         // 00000000B3E4: D048004E 00023D1E
	v_bfe_u32 v248, v30, 16, 1                                 // 00000000B3EC: D1C800F8 0205211E
	v_add3_u32 v248, v30, v248, v251                           // 00000000B3F4: D1FF00F8 07EFF11E
	v_cndmask_b32_e64 v28, v248, v250, s[78:79]                // 00000000B3FC: D100001C 013BF5F8
	v_lshrrev_b32_e32 v28, 16, v28                             // 00000000B404: 20383890
	v_cmp_u_f32_e64 s[78:79], v31, v31                         // 00000000B408: D048004E 00023F1F
	v_bfe_u32 v248, v31, 16, 1                                 // 00000000B410: D1C800F8 0205211F
	v_add3_u32 v248, v31, v248, v251                           // 00000000B418: D1FF00F8 07EFF11F
	v_cndmask_b32_e64 v29, v248, v250, s[78:79]                // 00000000B420: D100001D 013BF5F8
	v_and_or_b32 v75, v29, v249, v28                           // 00000000B428: D201004B 0473F31D
	v_accvgpr_read_b32 v30, a216                               // 00000000B430: D3D8401E 180001D8
	v_accvgpr_read_b32 v31, a217                               // 00000000B438: D3D8401F 180001D9
	v_mul_f32_e32 v30, s47, v30                                // 00000000B440: 0A3C3C2F
	v_mul_f32_e32 v31, s47, v31                                // 00000000B444: 0A3E3E2F
	v_cmp_u_f32_e64 s[78:79], v30, v30                         // 00000000B448: D048004E 00023D1E
	v_bfe_u32 v248, v30, 16, 1                                 // 00000000B450: D1C800F8 0205211E
	v_add3_u32 v248, v30, v248, v251                           // 00000000B458: D1FF00F8 07EFF11E
	v_cndmask_b32_e64 v28, v248, v250, s[78:79]                // 00000000B460: D100001C 013BF5F8
	v_lshrrev_b32_e32 v28, 16, v28                             // 00000000B468: 20383890
	v_cmp_u_f32_e64 s[78:79], v31, v31                         // 00000000B46C: D048004E 00023F1F
	v_bfe_u32 v248, v31, 16, 1                                 // 00000000B474: D1C800F8 0205211F
	v_add3_u32 v248, v31, v248, v251                           // 00000000B47C: D1FF00F8 07EFF11F
	v_cndmask_b32_e64 v29, v248, v250, s[78:79]                // 00000000B484: D100001D 013BF5F8
	v_and_or_b32 v76, v29, v249, v28                           // 00000000B48C: D201004C 0473F31D
	v_accvgpr_read_b32 v30, a218                               // 00000000B494: D3D8401E 180001DA
	v_accvgpr_read_b32 v31, a219                               // 00000000B49C: D3D8401F 180001DB
	v_mul_f32_e32 v30, s47, v30                                // 00000000B4A4: 0A3C3C2F
	v_mul_f32_e32 v31, s47, v31                                // 00000000B4A8: 0A3E3E2F
	v_cmp_u_f32_e64 s[78:79], v30, v30                         // 00000000B4AC: D048004E 00023D1E
	v_bfe_u32 v248, v30, 16, 1                                 // 00000000B4B4: D1C800F8 0205211E
	v_add3_u32 v248, v30, v248, v251                           // 00000000B4BC: D1FF00F8 07EFF11E
	v_cndmask_b32_e64 v28, v248, v250, s[78:79]                // 00000000B4C4: D100001C 013BF5F8
	v_lshrrev_b32_e32 v28, 16, v28                             // 00000000B4CC: 20383890
	v_cmp_u_f32_e64 s[78:79], v31, v31                         // 00000000B4D0: D048004E 00023F1F
	v_bfe_u32 v248, v31, 16, 1                                 // 00000000B4D8: D1C800F8 0205211F
	v_add3_u32 v248, v31, v248, v251                           // 00000000B4E0: D1FF00F8 07EFF11F
	v_cndmask_b32_e64 v29, v248, v250, s[78:79]                // 00000000B4E8: D100001D 013BF5F8
	v_and_or_b32 v77, v29, v249, v28                           // 00000000B4F0: D201004D 0473F31D
	v_accvgpr_read_b32 v30, a220                               // 00000000B4F8: D3D8401E 180001DC
	v_accvgpr_read_b32 v31, a221                               // 00000000B500: D3D8401F 180001DD
	v_mul_f32_e32 v30, s47, v30                                // 00000000B508: 0A3C3C2F
	v_mul_f32_e32 v31, s47, v31                                // 00000000B50C: 0A3E3E2F
	v_cmp_u_f32_e64 s[78:79], v30, v30                         // 00000000B510: D048004E 00023D1E
	v_bfe_u32 v248, v30, 16, 1                                 // 00000000B518: D1C800F8 0205211E
	v_add3_u32 v248, v30, v248, v251                           // 00000000B520: D1FF00F8 07EFF11E
	v_cndmask_b32_e64 v28, v248, v250, s[78:79]                // 00000000B528: D100001C 013BF5F8
	v_lshrrev_b32_e32 v28, 16, v28                             // 00000000B530: 20383890
	v_cmp_u_f32_e64 s[78:79], v31, v31                         // 00000000B534: D048004E 00023F1F
	v_bfe_u32 v248, v31, 16, 1                                 // 00000000B53C: D1C800F8 0205211F
	v_add3_u32 v248, v31, v248, v251                           // 00000000B544: D1FF00F8 07EFF11F
	v_cndmask_b32_e64 v29, v248, v250, s[78:79]                // 00000000B54C: D100001D 013BF5F8
	v_and_or_b32 v78, v29, v249, v28                           // 00000000B554: D201004E 0473F31D
	v_accvgpr_read_b32 v30, a222                               // 00000000B55C: D3D8401E 180001DE
	v_accvgpr_read_b32 v31, a223                               // 00000000B564: D3D8401F 180001DF
	v_mul_f32_e32 v30, s47, v30                                // 00000000B56C: 0A3C3C2F
	v_mul_f32_e32 v31, s47, v31                                // 00000000B570: 0A3E3E2F
	v_cmp_u_f32_e64 s[78:79], v30, v30                         // 00000000B574: D048004E 00023D1E
	v_bfe_u32 v248, v30, 16, 1                                 // 00000000B57C: D1C800F8 0205211E
	v_add3_u32 v248, v30, v248, v251                           // 00000000B584: D1FF00F8 07EFF11E
	v_cndmask_b32_e64 v28, v248, v250, s[78:79]                // 00000000B58C: D100001C 013BF5F8
	v_lshrrev_b32_e32 v28, 16, v28                             // 00000000B594: 20383890
	v_cmp_u_f32_e64 s[78:79], v31, v31                         // 00000000B598: D048004E 00023F1F
	v_bfe_u32 v248, v31, 16, 1                                 // 00000000B5A0: D1C800F8 0205211F
	v_add3_u32 v248, v31, v248, v251                           // 00000000B5A8: D1FF00F8 07EFF11F
	v_cndmask_b32_e64 v29, v248, v250, s[78:79]                // 00000000B5B0: D100001D 013BF5F8
	v_and_or_b32 v79, v29, v249, v28                           // 00000000B5B8: D201004F 0473F31D
	ds_write_b64 v25, v[64:65] offset:16896                    // 00000000B5C0: D89A4200 00004019
	ds_write_b64 v25, v[66:67] offset:17424                    // 00000000B5C8: D89A4410 00004219
	ds_write_b64 v25, v[68:69] offset:17952                    // 00000000B5D0: D89A4620 00004419
	ds_write_b64 v25, v[70:71] offset:18480                    // 00000000B5D8: D89A4830 00004619
	ds_write_b64 v25, v[72:73] offset:19008                    // 00000000B5E0: D89A4A40 00004819
	ds_write_b64 v25, v[74:75] offset:19536                    // 00000000B5E8: D89A4C50 00004A19
	ds_write_b64 v25, v[76:77] offset:20064                    // 00000000B5F0: D89A4E60 00004C19
	ds_write_b64 v25, v[78:79] offset:20592                    // 00000000B5F8: D89A5070 00004E19
	s_waitcnt lgkmcnt(0)                                       // 00000000B600: BF8CC07F
	s_barrier                                                  // 00000000B604: BF8A0000
	ds_read_b64 v[64:65], v24 offset:16896                     // 00000000B608: D8EC4200 40000018
	ds_read_b64 v[66:67], v24 offset:17024                     // 00000000B610: D8EC4280 42000018
	ds_read_b64 v[68:69], v24 offset:16928                     // 00000000B618: D8EC4220 44000018
	ds_read_b64 v[70:71], v24 offset:17056                     // 00000000B620: D8EC42A0 46000018
	ds_read_b64 v[72:73], v24 offset:16960                     // 00000000B628: D8EC4240 48000018
	ds_read_b64 v[74:75], v24 offset:17088                     // 00000000B630: D8EC42C0 4A000018
	ds_read_b64 v[76:77], v24 offset:16992                     // 00000000B638: D8EC4260 4C000018
	ds_read_b64 v[78:79], v24 offset:17120                     // 00000000B640: D8EC42E0 4E000018
	s_waitcnt lgkmcnt(0)                                       // 00000000B648: BF8CC07F
	s_mov_b32 s70, s52                                         // 00000000B64C: BEC60034
	s_mov_b64 exec, s[82:83]                                   // 00000000B650: BEFE0152
	buffer_store_dwordx4 v[64:67], v5, s[36:39], 0 idxen       // 00000000B654: E07C2000 80094005
	s_mov_b32 exec_lo, -1                                      // 00000000B65C: BEFE00C1
	s_mov_b32 exec_hi, -1                                      // 00000000B660: BEFF00C1
	v_add_u32_e32 v5, s70, v5                                  // 00000000B664: 680A0A46
	s_mov_b64 exec, s[82:83]                                   // 00000000B668: BEFE0152
	buffer_store_dwordx4 v[68:71], v5, s[36:39], 0 idxen       // 00000000B66C: E07C2000 80094405
	s_mov_b32 exec_lo, -1                                      // 00000000B674: BEFE00C1
	s_mov_b32 exec_hi, -1                                      // 00000000B678: BEFF00C1
	v_add_u32_e32 v5, s70, v5                                  // 00000000B67C: 680A0A46
	s_mov_b64 exec, s[82:83]                                   // 00000000B680: BEFE0152
	buffer_store_dwordx4 v[72:75], v5, s[36:39], 0 idxen       // 00000000B684: E07C2000 80094805
	s_mov_b32 exec_lo, -1                                      // 00000000B68C: BEFE00C1
	s_mov_b32 exec_hi, -1                                      // 00000000B690: BEFF00C1
	v_add_u32_e32 v5, s70, v5                                  // 00000000B694: 680A0A46
	s_mov_b64 exec, s[82:83]                                   // 00000000B698: BEFE0152
	buffer_store_dwordx4 v[76:79], v5, s[36:39], 0 idxen       // 00000000B69C: E07C2000 80094C05
	s_mov_b32 exec_lo, -1                                      // 00000000B6A4: BEFE00C1
	s_mov_b32 exec_hi, -1                                      // 00000000B6A8: BEFF00C1
	v_add_u32_e32 v5, s70, v5                                  // 00000000B6AC: 680A0A46
	s_mul_i32 s60, 12, s70                                     // 00000000B6B0: 923C468C
	v_add_u32_e32 v5, s60, v5                                  // 00000000B6B4: 680A0A3C
	s_barrier                                                  // 00000000B6B8: BF8A0000
	s_cmp_ge_i32 2, s72                                        // 00000000B6BC: BF034882
	s_cbranch_scc1 label_2016                                  // 00000000B6C0: BF8501D1
	v_accvgpr_read_b32 v30, a224                               // 00000000B6C4: D3D8401E 180001E0
	v_accvgpr_read_b32 v31, a225                               // 00000000B6CC: D3D8401F 180001E1
	v_mul_f32_e32 v30, s47, v30                                // 00000000B6D4: 0A3C3C2F
	v_mul_f32_e32 v31, s47, v31                                // 00000000B6D8: 0A3E3E2F
	v_cmp_u_f32_e64 s[78:79], v30, v30                         // 00000000B6DC: D048004E 00023D1E
	v_bfe_u32 v248, v30, 16, 1                                 // 00000000B6E4: D1C800F8 0205211E
	v_add3_u32 v248, v30, v248, v251                           // 00000000B6EC: D1FF00F8 07EFF11E
	v_cndmask_b32_e64 v28, v248, v250, s[78:79]                // 00000000B6F4: D100001C 013BF5F8
	v_lshrrev_b32_e32 v28, 16, v28                             // 00000000B6FC: 20383890
	v_cmp_u_f32_e64 s[78:79], v31, v31                         // 00000000B700: D048004E 00023F1F
	v_bfe_u32 v248, v31, 16, 1                                 // 00000000B708: D1C800F8 0205211F
	v_add3_u32 v248, v31, v248, v251                           // 00000000B710: D1FF00F8 07EFF11F
	v_cndmask_b32_e64 v29, v248, v250, s[78:79]                // 00000000B718: D100001D 013BF5F8
	v_and_or_b32 v80, v29, v249, v28                           // 00000000B720: D2010050 0473F31D
	v_accvgpr_read_b32 v30, a226                               // 00000000B728: D3D8401E 180001E2
	v_accvgpr_read_b32 v31, a227                               // 00000000B730: D3D8401F 180001E3
	v_mul_f32_e32 v30, s47, v30                                // 00000000B738: 0A3C3C2F
	v_mul_f32_e32 v31, s47, v31                                // 00000000B73C: 0A3E3E2F
	v_cmp_u_f32_e64 s[78:79], v30, v30                         // 00000000B740: D048004E 00023D1E
	v_bfe_u32 v248, v30, 16, 1                                 // 00000000B748: D1C800F8 0205211E
	v_add3_u32 v248, v30, v248, v251                           // 00000000B750: D1FF00F8 07EFF11E
	v_cndmask_b32_e64 v28, v248, v250, s[78:79]                // 00000000B758: D100001C 013BF5F8
	v_lshrrev_b32_e32 v28, 16, v28                             // 00000000B760: 20383890
	v_cmp_u_f32_e64 s[78:79], v31, v31                         // 00000000B764: D048004E 00023F1F
	v_bfe_u32 v248, v31, 16, 1                                 // 00000000B76C: D1C800F8 0205211F
	v_add3_u32 v248, v31, v248, v251                           // 00000000B774: D1FF00F8 07EFF11F
	v_cndmask_b32_e64 v29, v248, v250, s[78:79]                // 00000000B77C: D100001D 013BF5F8
	v_and_or_b32 v81, v29, v249, v28                           // 00000000B784: D2010051 0473F31D
	v_accvgpr_read_b32 v30, a228                               // 00000000B78C: D3D8401E 180001E4
	v_accvgpr_read_b32 v31, a229                               // 00000000B794: D3D8401F 180001E5
	v_mul_f32_e32 v30, s47, v30                                // 00000000B79C: 0A3C3C2F
	v_mul_f32_e32 v31, s47, v31                                // 00000000B7A0: 0A3E3E2F
	v_cmp_u_f32_e64 s[78:79], v30, v30                         // 00000000B7A4: D048004E 00023D1E
	v_bfe_u32 v248, v30, 16, 1                                 // 00000000B7AC: D1C800F8 0205211E
	v_add3_u32 v248, v30, v248, v251                           // 00000000B7B4: D1FF00F8 07EFF11E
	v_cndmask_b32_e64 v28, v248, v250, s[78:79]                // 00000000B7BC: D100001C 013BF5F8
	v_lshrrev_b32_e32 v28, 16, v28                             // 00000000B7C4: 20383890
	v_cmp_u_f32_e64 s[78:79], v31, v31                         // 00000000B7C8: D048004E 00023F1F
	v_bfe_u32 v248, v31, 16, 1                                 // 00000000B7D0: D1C800F8 0205211F
	v_add3_u32 v248, v31, v248, v251                           // 00000000B7D8: D1FF00F8 07EFF11F
	v_cndmask_b32_e64 v29, v248, v250, s[78:79]                // 00000000B7E0: D100001D 013BF5F8
	v_and_or_b32 v82, v29, v249, v28                           // 00000000B7E8: D2010052 0473F31D
	v_accvgpr_read_b32 v30, a230                               // 00000000B7F0: D3D8401E 180001E6
	v_accvgpr_read_b32 v31, a231                               // 00000000B7F8: D3D8401F 180001E7
	v_mul_f32_e32 v30, s47, v30                                // 00000000B800: 0A3C3C2F
	v_mul_f32_e32 v31, s47, v31                                // 00000000B804: 0A3E3E2F
	v_cmp_u_f32_e64 s[78:79], v30, v30                         // 00000000B808: D048004E 00023D1E
	v_bfe_u32 v248, v30, 16, 1                                 // 00000000B810: D1C800F8 0205211E
	v_add3_u32 v248, v30, v248, v251                           // 00000000B818: D1FF00F8 07EFF11E
	v_cndmask_b32_e64 v28, v248, v250, s[78:79]                // 00000000B820: D100001C 013BF5F8
	v_lshrrev_b32_e32 v28, 16, v28                             // 00000000B828: 20383890
	v_cmp_u_f32_e64 s[78:79], v31, v31                         // 00000000B82C: D048004E 00023F1F
	v_bfe_u32 v248, v31, 16, 1                                 // 00000000B834: D1C800F8 0205211F
	v_add3_u32 v248, v31, v248, v251                           // 00000000B83C: D1FF00F8 07EFF11F
	v_cndmask_b32_e64 v29, v248, v250, s[78:79]                // 00000000B844: D100001D 013BF5F8
	v_and_or_b32 v83, v29, v249, v28                           // 00000000B84C: D2010053 0473F31D
	v_accvgpr_read_b32 v30, a232                               // 00000000B854: D3D8401E 180001E8
	v_accvgpr_read_b32 v31, a233                               // 00000000B85C: D3D8401F 180001E9
	v_mul_f32_e32 v30, s47, v30                                // 00000000B864: 0A3C3C2F
	v_mul_f32_e32 v31, s47, v31                                // 00000000B868: 0A3E3E2F
	v_cmp_u_f32_e64 s[78:79], v30, v30                         // 00000000B86C: D048004E 00023D1E
	v_bfe_u32 v248, v30, 16, 1                                 // 00000000B874: D1C800F8 0205211E
	v_add3_u32 v248, v30, v248, v251                           // 00000000B87C: D1FF00F8 07EFF11E
	v_cndmask_b32_e64 v28, v248, v250, s[78:79]                // 00000000B884: D100001C 013BF5F8
	v_lshrrev_b32_e32 v28, 16, v28                             // 00000000B88C: 20383890
	v_cmp_u_f32_e64 s[78:79], v31, v31                         // 00000000B890: D048004E 00023F1F
	v_bfe_u32 v248, v31, 16, 1                                 // 00000000B898: D1C800F8 0205211F
	v_add3_u32 v248, v31, v248, v251                           // 00000000B8A0: D1FF00F8 07EFF11F
	v_cndmask_b32_e64 v29, v248, v250, s[78:79]                // 00000000B8A8: D100001D 013BF5F8
	v_and_or_b32 v84, v29, v249, v28                           // 00000000B8B0: D2010054 0473F31D
	v_accvgpr_read_b32 v30, a234                               // 00000000B8B8: D3D8401E 180001EA
	v_accvgpr_read_b32 v31, a235                               // 00000000B8C0: D3D8401F 180001EB
	v_mul_f32_e32 v30, s47, v30                                // 00000000B8C8: 0A3C3C2F
	v_mul_f32_e32 v31, s47, v31                                // 00000000B8CC: 0A3E3E2F
	v_cmp_u_f32_e64 s[78:79], v30, v30                         // 00000000B8D0: D048004E 00023D1E
	v_bfe_u32 v248, v30, 16, 1                                 // 00000000B8D8: D1C800F8 0205211E
	v_add3_u32 v248, v30, v248, v251                           // 00000000B8E0: D1FF00F8 07EFF11E
	v_cndmask_b32_e64 v28, v248, v250, s[78:79]                // 00000000B8E8: D100001C 013BF5F8
	v_lshrrev_b32_e32 v28, 16, v28                             // 00000000B8F0: 20383890
	v_cmp_u_f32_e64 s[78:79], v31, v31                         // 00000000B8F4: D048004E 00023F1F
	v_bfe_u32 v248, v31, 16, 1                                 // 00000000B8FC: D1C800F8 0205211F
	v_add3_u32 v248, v31, v248, v251                           // 00000000B904: D1FF00F8 07EFF11F
	v_cndmask_b32_e64 v29, v248, v250, s[78:79]                // 00000000B90C: D100001D 013BF5F8
	v_and_or_b32 v85, v29, v249, v28                           // 00000000B914: D2010055 0473F31D
	v_accvgpr_read_b32 v30, a236                               // 00000000B91C: D3D8401E 180001EC
	v_accvgpr_read_b32 v31, a237                               // 00000000B924: D3D8401F 180001ED
	v_mul_f32_e32 v30, s47, v30                                // 00000000B92C: 0A3C3C2F
	v_mul_f32_e32 v31, s47, v31                                // 00000000B930: 0A3E3E2F
	v_cmp_u_f32_e64 s[78:79], v30, v30                         // 00000000B934: D048004E 00023D1E
	v_bfe_u32 v248, v30, 16, 1                                 // 00000000B93C: D1C800F8 0205211E
	v_add3_u32 v248, v30, v248, v251                           // 00000000B944: D1FF00F8 07EFF11E
	v_cndmask_b32_e64 v28, v248, v250, s[78:79]                // 00000000B94C: D100001C 013BF5F8
	v_lshrrev_b32_e32 v28, 16, v28                             // 00000000B954: 20383890
	v_cmp_u_f32_e64 s[78:79], v31, v31                         // 00000000B958: D048004E 00023F1F
	v_bfe_u32 v248, v31, 16, 1                                 // 00000000B960: D1C800F8 0205211F
	v_add3_u32 v248, v31, v248, v251                           // 00000000B968: D1FF00F8 07EFF11F
	v_cndmask_b32_e64 v29, v248, v250, s[78:79]                // 00000000B970: D100001D 013BF5F8
	v_and_or_b32 v86, v29, v249, v28                           // 00000000B978: D2010056 0473F31D
	v_accvgpr_read_b32 v30, a238                               // 00000000B980: D3D8401E 180001EE
	v_accvgpr_read_b32 v31, a239                               // 00000000B988: D3D8401F 180001EF
	v_mul_f32_e32 v30, s47, v30                                // 00000000B990: 0A3C3C2F
	v_mul_f32_e32 v31, s47, v31                                // 00000000B994: 0A3E3E2F
	v_cmp_u_f32_e64 s[78:79], v30, v30                         // 00000000B998: D048004E 00023D1E
	v_bfe_u32 v248, v30, 16, 1                                 // 00000000B9A0: D1C800F8 0205211E
	v_add3_u32 v248, v30, v248, v251                           // 00000000B9A8: D1FF00F8 07EFF11E
	v_cndmask_b32_e64 v28, v248, v250, s[78:79]                // 00000000B9B0: D100001C 013BF5F8
	v_lshrrev_b32_e32 v28, 16, v28                             // 00000000B9B8: 20383890
	v_cmp_u_f32_e64 s[78:79], v31, v31                         // 00000000B9BC: D048004E 00023F1F
	v_bfe_u32 v248, v31, 16, 1                                 // 00000000B9C4: D1C800F8 0205211F
	v_add3_u32 v248, v31, v248, v251                           // 00000000B9CC: D1FF00F8 07EFF11F
	v_cndmask_b32_e64 v29, v248, v250, s[78:79]                // 00000000B9D4: D100001D 013BF5F8
	v_and_or_b32 v87, v29, v249, v28                           // 00000000B9DC: D2010057 0473F31D
	v_accvgpr_read_b32 v30, a240                               // 00000000B9E4: D3D8401E 180001F0
	v_accvgpr_read_b32 v31, a241                               // 00000000B9EC: D3D8401F 180001F1
	v_mul_f32_e32 v30, s47, v30                                // 00000000B9F4: 0A3C3C2F
	v_mul_f32_e32 v31, s47, v31                                // 00000000B9F8: 0A3E3E2F
	v_cmp_u_f32_e64 s[78:79], v30, v30                         // 00000000B9FC: D048004E 00023D1E
	v_bfe_u32 v248, v30, 16, 1                                 // 00000000BA04: D1C800F8 0205211E
	v_add3_u32 v248, v30, v248, v251                           // 00000000BA0C: D1FF00F8 07EFF11E
	v_cndmask_b32_e64 v28, v248, v250, s[78:79]                // 00000000BA14: D100001C 013BF5F8
	v_lshrrev_b32_e32 v28, 16, v28                             // 00000000BA1C: 20383890
	v_cmp_u_f32_e64 s[78:79], v31, v31                         // 00000000BA20: D048004E 00023F1F
	v_bfe_u32 v248, v31, 16, 1                                 // 00000000BA28: D1C800F8 0205211F
	v_add3_u32 v248, v31, v248, v251                           // 00000000BA30: D1FF00F8 07EFF11F
	v_cndmask_b32_e64 v29, v248, v250, s[78:79]                // 00000000BA38: D100001D 013BF5F8
	v_and_or_b32 v88, v29, v249, v28                           // 00000000BA40: D2010058 0473F31D
	v_accvgpr_read_b32 v30, a242                               // 00000000BA48: D3D8401E 180001F2
	v_accvgpr_read_b32 v31, a243                               // 00000000BA50: D3D8401F 180001F3
	v_mul_f32_e32 v30, s47, v30                                // 00000000BA58: 0A3C3C2F
	v_mul_f32_e32 v31, s47, v31                                // 00000000BA5C: 0A3E3E2F
	v_cmp_u_f32_e64 s[78:79], v30, v30                         // 00000000BA60: D048004E 00023D1E
	v_bfe_u32 v248, v30, 16, 1                                 // 00000000BA68: D1C800F8 0205211E
	v_add3_u32 v248, v30, v248, v251                           // 00000000BA70: D1FF00F8 07EFF11E
	v_cndmask_b32_e64 v28, v248, v250, s[78:79]                // 00000000BA78: D100001C 013BF5F8
	v_lshrrev_b32_e32 v28, 16, v28                             // 00000000BA80: 20383890
	v_cmp_u_f32_e64 s[78:79], v31, v31                         // 00000000BA84: D048004E 00023F1F
	v_bfe_u32 v248, v31, 16, 1                                 // 00000000BA8C: D1C800F8 0205211F
	v_add3_u32 v248, v31, v248, v251                           // 00000000BA94: D1FF00F8 07EFF11F
	v_cndmask_b32_e64 v29, v248, v250, s[78:79]                // 00000000BA9C: D100001D 013BF5F8
	v_and_or_b32 v89, v29, v249, v28                           // 00000000BAA4: D2010059 0473F31D
	v_accvgpr_read_b32 v30, a244                               // 00000000BAAC: D3D8401E 180001F4
	v_accvgpr_read_b32 v31, a245                               // 00000000BAB4: D3D8401F 180001F5
	v_mul_f32_e32 v30, s47, v30                                // 00000000BABC: 0A3C3C2F
	v_mul_f32_e32 v31, s47, v31                                // 00000000BAC0: 0A3E3E2F
	v_cmp_u_f32_e64 s[78:79], v30, v30                         // 00000000BAC4: D048004E 00023D1E
	v_bfe_u32 v248, v30, 16, 1                                 // 00000000BACC: D1C800F8 0205211E
	v_add3_u32 v248, v30, v248, v251                           // 00000000BAD4: D1FF00F8 07EFF11E
	v_cndmask_b32_e64 v28, v248, v250, s[78:79]                // 00000000BADC: D100001C 013BF5F8
	v_lshrrev_b32_e32 v28, 16, v28                             // 00000000BAE4: 20383890
	v_cmp_u_f32_e64 s[78:79], v31, v31                         // 00000000BAE8: D048004E 00023F1F
	v_bfe_u32 v248, v31, 16, 1                                 // 00000000BAF0: D1C800F8 0205211F
	v_add3_u32 v248, v31, v248, v251                           // 00000000BAF8: D1FF00F8 07EFF11F
	v_cndmask_b32_e64 v29, v248, v250, s[78:79]                // 00000000BB00: D100001D 013BF5F8
	v_and_or_b32 v90, v29, v249, v28                           // 00000000BB08: D201005A 0473F31D
	v_accvgpr_read_b32 v30, a246                               // 00000000BB10: D3D8401E 180001F6
	v_accvgpr_read_b32 v31, a247                               // 00000000BB18: D3D8401F 180001F7
	v_mul_f32_e32 v30, s47, v30                                // 00000000BB20: 0A3C3C2F
	v_mul_f32_e32 v31, s47, v31                                // 00000000BB24: 0A3E3E2F
	v_cmp_u_f32_e64 s[78:79], v30, v30                         // 00000000BB28: D048004E 00023D1E
	v_bfe_u32 v248, v30, 16, 1                                 // 00000000BB30: D1C800F8 0205211E
	v_add3_u32 v248, v30, v248, v251                           // 00000000BB38: D1FF00F8 07EFF11E
	v_cndmask_b32_e64 v28, v248, v250, s[78:79]                // 00000000BB40: D100001C 013BF5F8
	v_lshrrev_b32_e32 v28, 16, v28                             // 00000000BB48: 20383890
	v_cmp_u_f32_e64 s[78:79], v31, v31                         // 00000000BB4C: D048004E 00023F1F
	v_bfe_u32 v248, v31, 16, 1                                 // 00000000BB54: D1C800F8 0205211F
	v_add3_u32 v248, v31, v248, v251                           // 00000000BB5C: D1FF00F8 07EFF11F
	v_cndmask_b32_e64 v29, v248, v250, s[78:79]                // 00000000BB64: D100001D 013BF5F8
	v_and_or_b32 v91, v29, v249, v28                           // 00000000BB6C: D201005B 0473F31D
	v_accvgpr_read_b32 v30, a248                               // 00000000BB74: D3D8401E 180001F8
	v_accvgpr_read_b32 v31, a249                               // 00000000BB7C: D3D8401F 180001F9
	v_mul_f32_e32 v30, s47, v30                                // 00000000BB84: 0A3C3C2F
	v_mul_f32_e32 v31, s47, v31                                // 00000000BB88: 0A3E3E2F
	v_cmp_u_f32_e64 s[78:79], v30, v30                         // 00000000BB8C: D048004E 00023D1E
	v_bfe_u32 v248, v30, 16, 1                                 // 00000000BB94: D1C800F8 0205211E
	v_add3_u32 v248, v30, v248, v251                           // 00000000BB9C: D1FF00F8 07EFF11E
	v_cndmask_b32_e64 v28, v248, v250, s[78:79]                // 00000000BBA4: D100001C 013BF5F8
	v_lshrrev_b32_e32 v28, 16, v28                             // 00000000BBAC: 20383890
	v_cmp_u_f32_e64 s[78:79], v31, v31                         // 00000000BBB0: D048004E 00023F1F
	v_bfe_u32 v248, v31, 16, 1                                 // 00000000BBB8: D1C800F8 0205211F
	v_add3_u32 v248, v31, v248, v251                           // 00000000BBC0: D1FF00F8 07EFF11F
	v_cndmask_b32_e64 v29, v248, v250, s[78:79]                // 00000000BBC8: D100001D 013BF5F8
	v_and_or_b32 v92, v29, v249, v28                           // 00000000BBD0: D201005C 0473F31D
	v_accvgpr_read_b32 v30, a250                               // 00000000BBD8: D3D8401E 180001FA
	v_accvgpr_read_b32 v31, a251                               // 00000000BBE0: D3D8401F 180001FB
	v_mul_f32_e32 v30, s47, v30                                // 00000000BBE8: 0A3C3C2F
	v_mul_f32_e32 v31, s47, v31                                // 00000000BBEC: 0A3E3E2F
	v_cmp_u_f32_e64 s[78:79], v30, v30                         // 00000000BBF0: D048004E 00023D1E
	v_bfe_u32 v248, v30, 16, 1                                 // 00000000BBF8: D1C800F8 0205211E
	v_add3_u32 v248, v30, v248, v251                           // 00000000BC00: D1FF00F8 07EFF11E
	v_cndmask_b32_e64 v28, v248, v250, s[78:79]                // 00000000BC08: D100001C 013BF5F8
	v_lshrrev_b32_e32 v28, 16, v28                             // 00000000BC10: 20383890
	v_cmp_u_f32_e64 s[78:79], v31, v31                         // 00000000BC14: D048004E 00023F1F
	v_bfe_u32 v248, v31, 16, 1                                 // 00000000BC1C: D1C800F8 0205211F
	v_add3_u32 v248, v31, v248, v251                           // 00000000BC24: D1FF00F8 07EFF11F
	v_cndmask_b32_e64 v29, v248, v250, s[78:79]                // 00000000BC2C: D100001D 013BF5F8
	v_and_or_b32 v93, v29, v249, v28                           // 00000000BC34: D201005D 0473F31D
	v_accvgpr_read_b32 v30, a252                               // 00000000BC3C: D3D8401E 180001FC
	v_accvgpr_read_b32 v31, a253                               // 00000000BC44: D3D8401F 180001FD
	v_mul_f32_e32 v30, s47, v30                                // 00000000BC4C: 0A3C3C2F
	v_mul_f32_e32 v31, s47, v31                                // 00000000BC50: 0A3E3E2F
	v_cmp_u_f32_e64 s[78:79], v30, v30                         // 00000000BC54: D048004E 00023D1E
	v_bfe_u32 v248, v30, 16, 1                                 // 00000000BC5C: D1C800F8 0205211E
	v_add3_u32 v248, v30, v248, v251                           // 00000000BC64: D1FF00F8 07EFF11E
	v_cndmask_b32_e64 v28, v248, v250, s[78:79]                // 00000000BC6C: D100001C 013BF5F8
	v_lshrrev_b32_e32 v28, 16, v28                             // 00000000BC74: 20383890
	v_cmp_u_f32_e64 s[78:79], v31, v31                         // 00000000BC78: D048004E 00023F1F
	v_bfe_u32 v248, v31, 16, 1                                 // 00000000BC80: D1C800F8 0205211F
	v_add3_u32 v248, v31, v248, v251                           // 00000000BC88: D1FF00F8 07EFF11F
	v_cndmask_b32_e64 v29, v248, v250, s[78:79]                // 00000000BC90: D100001D 013BF5F8
	v_and_or_b32 v94, v29, v249, v28                           // 00000000BC98: D201005E 0473F31D
	v_accvgpr_read_b32 v30, a254                               // 00000000BCA0: D3D8401E 180001FE
	v_accvgpr_read_b32 v31, a255                               // 00000000BCA8: D3D8401F 180001FF
	v_mul_f32_e32 v30, s47, v30                                // 00000000BCB0: 0A3C3C2F
	v_mul_f32_e32 v31, s47, v31                                // 00000000BCB4: 0A3E3E2F
	v_cmp_u_f32_e64 s[78:79], v30, v30                         // 00000000BCB8: D048004E 00023D1E
	v_bfe_u32 v248, v30, 16, 1                                 // 00000000BCC0: D1C800F8 0205211E
	v_add3_u32 v248, v30, v248, v251                           // 00000000BCC8: D1FF00F8 07EFF11E
	v_cndmask_b32_e64 v28, v248, v250, s[78:79]                // 00000000BCD0: D100001C 013BF5F8
	v_lshrrev_b32_e32 v28, 16, v28                             // 00000000BCD8: 20383890
	v_cmp_u_f32_e64 s[78:79], v31, v31                         // 00000000BCDC: D048004E 00023F1F
	v_bfe_u32 v248, v31, 16, 1                                 // 00000000BCE4: D1C800F8 0205211F
	v_add3_u32 v248, v31, v248, v251                           // 00000000BCEC: D1FF00F8 07EFF11F
	v_cndmask_b32_e64 v29, v248, v250, s[78:79]                // 00000000BCF4: D100001D 013BF5F8
	v_and_or_b32 v95, v29, v249, v28                           // 00000000BCFC: D201005F 0473F31D
	ds_write_b64 v25, v[80:81] offset:33792                    // 00000000BD04: D89A8400 00005019
	ds_write_b64 v25, v[82:83] offset:34320                    // 00000000BD0C: D89A8610 00005219
	ds_write_b64 v25, v[84:85] offset:34848                    // 00000000BD14: D89A8820 00005419
	ds_write_b64 v25, v[86:87] offset:35376                    // 00000000BD1C: D89A8A30 00005619
	ds_write_b64 v25, v[88:89] offset:35904                    // 00000000BD24: D89A8C40 00005819
	ds_write_b64 v25, v[90:91] offset:36432                    // 00000000BD2C: D89A8E50 00005A19
	ds_write_b64 v25, v[92:93] offset:36960                    // 00000000BD34: D89A9060 00005C19
	ds_write_b64 v25, v[94:95] offset:37488                    // 00000000BD3C: D89A9270 00005E19
	s_waitcnt lgkmcnt(0)                                       // 00000000BD44: BF8CC07F
	s_barrier                                                  // 00000000BD48: BF8A0000
	ds_read_b64 v[80:81], v24 offset:33792                     // 00000000BD4C: D8EC8400 50000018
	ds_read_b64 v[82:83], v24 offset:33920                     // 00000000BD54: D8EC8480 52000018
	ds_read_b64 v[84:85], v24 offset:33824                     // 00000000BD5C: D8EC8420 54000018
	ds_read_b64 v[86:87], v24 offset:33952                     // 00000000BD64: D8EC84A0 56000018
	ds_read_b64 v[88:89], v24 offset:33856                     // 00000000BD6C: D8EC8440 58000018
	ds_read_b64 v[90:91], v24 offset:33984                     // 00000000BD74: D8EC84C0 5A000018
	ds_read_b64 v[92:93], v24 offset:33888                     // 00000000BD7C: D8EC8460 5C000018
	ds_read_b64 v[94:95], v24 offset:34016                     // 00000000BD84: D8EC84E0 5E000018
	s_waitcnt lgkmcnt(0)                                       // 00000000BD8C: BF8CC07F
	s_mov_b32 s70, s52                                         // 00000000BD90: BEC60034
	s_mov_b64 exec, s[82:83]                                   // 00000000BD94: BEFE0152
	buffer_store_dwordx4 v[80:83], v5, s[36:39], 0 idxen       // 00000000BD98: E07C2000 80095005
	s_mov_b32 exec_lo, -1                                      // 00000000BDA0: BEFE00C1
	s_mov_b32 exec_hi, -1                                      // 00000000BDA4: BEFF00C1
	v_add_u32_e32 v5, s70, v5                                  // 00000000BDA8: 680A0A46
	s_mov_b64 exec, s[82:83]                                   // 00000000BDAC: BEFE0152
	buffer_store_dwordx4 v[84:87], v5, s[36:39], 0 idxen       // 00000000BDB0: E07C2000 80095405
	s_mov_b32 exec_lo, -1                                      // 00000000BDB8: BEFE00C1
	s_mov_b32 exec_hi, -1                                      // 00000000BDBC: BEFF00C1
	v_add_u32_e32 v5, s70, v5                                  // 00000000BDC0: 680A0A46
	s_mov_b64 exec, s[82:83]                                   // 00000000BDC4: BEFE0152
	buffer_store_dwordx4 v[88:91], v5, s[36:39], 0 idxen       // 00000000BDC8: E07C2000 80095805
	s_mov_b32 exec_lo, -1                                      // 00000000BDD0: BEFE00C1
	s_mov_b32 exec_hi, -1                                      // 00000000BDD4: BEFF00C1
	v_add_u32_e32 v5, s70, v5                                  // 00000000BDD8: 680A0A46
	s_mov_b64 exec, s[82:83]                                   // 00000000BDDC: BEFE0152
	buffer_store_dwordx4 v[92:95], v5, s[36:39], 0 idxen       // 00000000BDE0: E07C2000 80095C05
	s_mov_b32 exec_lo, -1                                      // 00000000BDE8: BEFE00C1
	s_mov_b32 exec_hi, -1                                      // 00000000BDEC: BEFF00C1
	v_add_u32_e32 v5, s70, v5                                  // 00000000BDF0: 680A0A46
	s_mul_i32 s60, 12, s70                                     // 00000000BDF4: 923C468C
	v_add_u32_e32 v5, s60, v5                                  // 00000000BDF8: 680A0A3C
	s_barrier                                                  // 00000000BDFC: BF8A0000
	s_cmp_ge_i32 3, s72                                        // 00000000BE00: BF034883
	s_cbranch_scc1 label_2016                                  // 00000000BE04: BF850000

000000000000be08 <label_2016>:
	v_mov_b32_e32 v30, v152                                    // 00000000BE08: 7E3C0398
	v_mov_b32_e32 v31, v153                                    // 00000000BE0C: 7E3E0399
	v_cmp_u_f32_e64 s[78:79], v30, v30                         // 00000000BE10: D048004E 00023D1E
	v_bfe_u32 v248, v30, 16, 1                                 // 00000000BE18: D1C800F8 0205211E
	v_add3_u32 v248, v30, v248, v251                           // 00000000BE20: D1FF00F8 07EFF11E
	v_cndmask_b32_e64 v28, v248, v250, s[78:79]                // 00000000BE28: D100001C 013BF5F8
	v_lshrrev_b32_e32 v28, 16, v28                             // 00000000BE30: 20383890
	v_cmp_u_f32_e64 s[78:79], v31, v31                         // 00000000BE34: D048004E 00023F1F
	v_bfe_u32 v248, v31, 16, 1                                 // 00000000BE3C: D1C800F8 0205211F
	v_add3_u32 v248, v31, v248, v251                           // 00000000BE44: D1FF00F8 07EFF11F
	v_cndmask_b32_e64 v29, v248, v250, s[78:79]                // 00000000BE4C: D100001D 013BF5F8
	v_and_or_b32 v152, v29, v249, v28                          // 00000000BE54: D2010098 0473F31D
	v_mov_b32_e32 v30, v154                                    // 00000000BE5C: 7E3C039A
	v_mov_b32_e32 v31, v155                                    // 00000000BE60: 7E3E039B
	v_cmp_u_f32_e64 s[78:79], v30, v30                         // 00000000BE64: D048004E 00023D1E
	v_bfe_u32 v248, v30, 16, 1                                 // 00000000BE6C: D1C800F8 0205211E
	v_add3_u32 v248, v30, v248, v251                           // 00000000BE74: D1FF00F8 07EFF11E
	v_cndmask_b32_e64 v28, v248, v250, s[78:79]                // 00000000BE7C: D100001C 013BF5F8
	v_lshrrev_b32_e32 v28, 16, v28                             // 00000000BE84: 20383890
	v_cmp_u_f32_e64 s[78:79], v31, v31                         // 00000000BE88: D048004E 00023F1F
	v_bfe_u32 v248, v31, 16, 1                                 // 00000000BE90: D1C800F8 0205211F
	v_add3_u32 v248, v31, v248, v251                           // 00000000BE98: D1FF00F8 07EFF11F
	v_cndmask_b32_e64 v29, v248, v250, s[78:79]                // 00000000BEA0: D100001D 013BF5F8
	v_and_or_b32 v153, v29, v249, v28                          // 00000000BEA8: D2010099 0473F31D
	v_mov_b32_e32 v30, v156                                    // 00000000BEB0: 7E3C039C
	v_mov_b32_e32 v31, v157                                    // 00000000BEB4: 7E3E039D
	v_cmp_u_f32_e64 s[78:79], v30, v30                         // 00000000BEB8: D048004E 00023D1E
	v_bfe_u32 v248, v30, 16, 1                                 // 00000000BEC0: D1C800F8 0205211E
	v_add3_u32 v248, v30, v248, v251                           // 00000000BEC8: D1FF00F8 07EFF11E
	v_cndmask_b32_e64 v28, v248, v250, s[78:79]                // 00000000BED0: D100001C 013BF5F8
	v_lshrrev_b32_e32 v28, 16, v28                             // 00000000BED8: 20383890
	v_cmp_u_f32_e64 s[78:79], v31, v31                         // 00000000BEDC: D048004E 00023F1F
	v_bfe_u32 v248, v31, 16, 1                                 // 00000000BEE4: D1C800F8 0205211F
	v_add3_u32 v248, v31, v248, v251                           // 00000000BEEC: D1FF00F8 07EFF11F
	v_cndmask_b32_e64 v29, v248, v250, s[78:79]                // 00000000BEF4: D100001D 013BF5F8
	v_and_or_b32 v154, v29, v249, v28                          // 00000000BEFC: D201009A 0473F31D
	v_mov_b32_e32 v30, v158                                    // 00000000BF04: 7E3C039E
	v_mov_b32_e32 v31, v159                                    // 00000000BF08: 7E3E039F
	v_cmp_u_f32_e64 s[78:79], v30, v30                         // 00000000BF0C: D048004E 00023D1E
	v_bfe_u32 v248, v30, 16, 1                                 // 00000000BF14: D1C800F8 0205211E
	v_add3_u32 v248, v30, v248, v251                           // 00000000BF1C: D1FF00F8 07EFF11E
	v_cndmask_b32_e64 v28, v248, v250, s[78:79]                // 00000000BF24: D100001C 013BF5F8
	v_lshrrev_b32_e32 v28, 16, v28                             // 00000000BF2C: 20383890
	v_cmp_u_f32_e64 s[78:79], v31, v31                         // 00000000BF30: D048004E 00023F1F
	v_bfe_u32 v248, v31, 16, 1                                 // 00000000BF38: D1C800F8 0205211F
	v_add3_u32 v248, v31, v248, v251                           // 00000000BF40: D1FF00F8 07EFF11F
	v_cndmask_b32_e64 v29, v248, v250, s[78:79]                // 00000000BF48: D100001D 013BF5F8
	v_and_or_b32 v155, v29, v249, v28                          // 00000000BF50: D201009B 0473F31D
	v_mov_b32_e32 v30, v160                                    // 00000000BF58: 7E3C03A0
	v_mov_b32_e32 v31, v161                                    // 00000000BF5C: 7E3E03A1
	v_cmp_u_f32_e64 s[78:79], v30, v30                         // 00000000BF60: D048004E 00023D1E
	v_bfe_u32 v248, v30, 16, 1                                 // 00000000BF68: D1C800F8 0205211E
	v_add3_u32 v248, v30, v248, v251                           // 00000000BF70: D1FF00F8 07EFF11E
	v_cndmask_b32_e64 v28, v248, v250, s[78:79]                // 00000000BF78: D100001C 013BF5F8
	v_lshrrev_b32_e32 v28, 16, v28                             // 00000000BF80: 20383890
	v_cmp_u_f32_e64 s[78:79], v31, v31                         // 00000000BF84: D048004E 00023F1F
	v_bfe_u32 v248, v31, 16, 1                                 // 00000000BF8C: D1C800F8 0205211F
	v_add3_u32 v248, v31, v248, v251                           // 00000000BF94: D1FF00F8 07EFF11F
	v_cndmask_b32_e64 v29, v248, v250, s[78:79]                // 00000000BF9C: D100001D 013BF5F8
	v_and_or_b32 v156, v29, v249, v28                          // 00000000BFA4: D201009C 0473F31D
	v_mov_b32_e32 v30, v162                                    // 00000000BFAC: 7E3C03A2
	v_mov_b32_e32 v31, v163                                    // 00000000BFB0: 7E3E03A3
	v_cmp_u_f32_e64 s[78:79], v30, v30                         // 00000000BFB4: D048004E 00023D1E
	v_bfe_u32 v248, v30, 16, 1                                 // 00000000BFBC: D1C800F8 0205211E
	v_add3_u32 v248, v30, v248, v251                           // 00000000BFC4: D1FF00F8 07EFF11E
	v_cndmask_b32_e64 v28, v248, v250, s[78:79]                // 00000000BFCC: D100001C 013BF5F8
	v_lshrrev_b32_e32 v28, 16, v28                             // 00000000BFD4: 20383890
	v_cmp_u_f32_e64 s[78:79], v31, v31                         // 00000000BFD8: D048004E 00023F1F
	v_bfe_u32 v248, v31, 16, 1                                 // 00000000BFE0: D1C800F8 0205211F
	v_add3_u32 v248, v31, v248, v251                           // 00000000BFE8: D1FF00F8 07EFF11F
	v_cndmask_b32_e64 v29, v248, v250, s[78:79]                // 00000000BFF0: D100001D 013BF5F8
	v_and_or_b32 v157, v29, v249, v28                          // 00000000BFF8: D201009D 0473F31D
	v_mov_b32_e32 v30, v164                                    // 00000000C000: 7E3C03A4
	v_mov_b32_e32 v31, v165                                    // 00000000C004: 7E3E03A5
	v_cmp_u_f32_e64 s[78:79], v30, v30                         // 00000000C008: D048004E 00023D1E
	v_bfe_u32 v248, v30, 16, 1                                 // 00000000C010: D1C800F8 0205211E
	v_add3_u32 v248, v30, v248, v251                           // 00000000C018: D1FF00F8 07EFF11E
	v_cndmask_b32_e64 v28, v248, v250, s[78:79]                // 00000000C020: D100001C 013BF5F8
	v_lshrrev_b32_e32 v28, 16, v28                             // 00000000C028: 20383890
	v_cmp_u_f32_e64 s[78:79], v31, v31                         // 00000000C02C: D048004E 00023F1F
	v_bfe_u32 v248, v31, 16, 1                                 // 00000000C034: D1C800F8 0205211F
	v_add3_u32 v248, v31, v248, v251                           // 00000000C03C: D1FF00F8 07EFF11F
	v_cndmask_b32_e64 v29, v248, v250, s[78:79]                // 00000000C044: D100001D 013BF5F8
	v_and_or_b32 v158, v29, v249, v28                          // 00000000C04C: D201009E 0473F31D
	v_mov_b32_e32 v30, v166                                    // 00000000C054: 7E3C03A6
	v_mov_b32_e32 v31, v167                                    // 00000000C058: 7E3E03A7
	v_cmp_u_f32_e64 s[78:79], v30, v30                         // 00000000C05C: D048004E 00023D1E
	v_bfe_u32 v248, v30, 16, 1                                 // 00000000C064: D1C800F8 0205211E
	v_add3_u32 v248, v30, v248, v251                           // 00000000C06C: D1FF00F8 07EFF11E
	v_cndmask_b32_e64 v28, v248, v250, s[78:79]                // 00000000C074: D100001C 013BF5F8
	v_lshrrev_b32_e32 v28, 16, v28                             // 00000000C07C: 20383890
	v_cmp_u_f32_e64 s[78:79], v31, v31                         // 00000000C080: D048004E 00023F1F
	v_bfe_u32 v248, v31, 16, 1                                 // 00000000C088: D1C800F8 0205211F
	v_add3_u32 v248, v31, v248, v251                           // 00000000C090: D1FF00F8 07EFF11F
	v_cndmask_b32_e64 v29, v248, v250, s[78:79]                // 00000000C098: D100001D 013BF5F8
	v_and_or_b32 v159, v29, v249, v28                          // 00000000C0A0: D201009F 0473F31D
	v_mov_b32_e32 v30, v168                                    // 00000000C0A8: 7E3C03A8
	v_mov_b32_e32 v31, v169                                    // 00000000C0AC: 7E3E03A9
	v_cmp_u_f32_e64 s[78:79], v30, v30                         // 00000000C0B0: D048004E 00023D1E
	v_bfe_u32 v248, v30, 16, 1                                 // 00000000C0B8: D1C800F8 0205211E
	v_add3_u32 v248, v30, v248, v251                           // 00000000C0C0: D1FF00F8 07EFF11E
	v_cndmask_b32_e64 v28, v248, v250, s[78:79]                // 00000000C0C8: D100001C 013BF5F8
	v_lshrrev_b32_e32 v28, 16, v28                             // 00000000C0D0: 20383890
	v_cmp_u_f32_e64 s[78:79], v31, v31                         // 00000000C0D4: D048004E 00023F1F
	v_bfe_u32 v248, v31, 16, 1                                 // 00000000C0DC: D1C800F8 0205211F
	v_add3_u32 v248, v31, v248, v251                           // 00000000C0E4: D1FF00F8 07EFF11F
	v_cndmask_b32_e64 v29, v248, v250, s[78:79]                // 00000000C0EC: D100001D 013BF5F8
	v_and_or_b32 v160, v29, v249, v28                          // 00000000C0F4: D20100A0 0473F31D
	v_mov_b32_e32 v30, v170                                    // 00000000C0FC: 7E3C03AA
	v_mov_b32_e32 v31, v171                                    // 00000000C100: 7E3E03AB
	v_cmp_u_f32_e64 s[78:79], v30, v30                         // 00000000C104: D048004E 00023D1E
	v_bfe_u32 v248, v30, 16, 1                                 // 00000000C10C: D1C800F8 0205211E
	v_add3_u32 v248, v30, v248, v251                           // 00000000C114: D1FF00F8 07EFF11E
	v_cndmask_b32_e64 v28, v248, v250, s[78:79]                // 00000000C11C: D100001C 013BF5F8
	v_lshrrev_b32_e32 v28, 16, v28                             // 00000000C124: 20383890
	v_cmp_u_f32_e64 s[78:79], v31, v31                         // 00000000C128: D048004E 00023F1F
	v_bfe_u32 v248, v31, 16, 1                                 // 00000000C130: D1C800F8 0205211F
	v_add3_u32 v248, v31, v248, v251                           // 00000000C138: D1FF00F8 07EFF11F
	v_cndmask_b32_e64 v29, v248, v250, s[78:79]                // 00000000C140: D100001D 013BF5F8
	v_and_or_b32 v161, v29, v249, v28                          // 00000000C148: D20100A1 0473F31D
	v_mov_b32_e32 v30, v172                                    // 00000000C150: 7E3C03AC
	v_mov_b32_e32 v31, v173                                    // 00000000C154: 7E3E03AD
	v_cmp_u_f32_e64 s[78:79], v30, v30                         // 00000000C158: D048004E 00023D1E
	v_bfe_u32 v248, v30, 16, 1                                 // 00000000C160: D1C800F8 0205211E
	v_add3_u32 v248, v30, v248, v251                           // 00000000C168: D1FF00F8 07EFF11E
	v_cndmask_b32_e64 v28, v248, v250, s[78:79]                // 00000000C170: D100001C 013BF5F8
	v_lshrrev_b32_e32 v28, 16, v28                             // 00000000C178: 20383890
	v_cmp_u_f32_e64 s[78:79], v31, v31                         // 00000000C17C: D048004E 00023F1F
	v_bfe_u32 v248, v31, 16, 1                                 // 00000000C184: D1C800F8 0205211F
	v_add3_u32 v248, v31, v248, v251                           // 00000000C18C: D1FF00F8 07EFF11F
	v_cndmask_b32_e64 v29, v248, v250, s[78:79]                // 00000000C194: D100001D 013BF5F8
	v_and_or_b32 v162, v29, v249, v28                          // 00000000C19C: D20100A2 0473F31D
	v_mov_b32_e32 v30, v174                                    // 00000000C1A4: 7E3C03AE
	v_mov_b32_e32 v31, v175                                    // 00000000C1A8: 7E3E03AF
	v_cmp_u_f32_e64 s[78:79], v30, v30                         // 00000000C1AC: D048004E 00023D1E
	v_bfe_u32 v248, v30, 16, 1                                 // 00000000C1B4: D1C800F8 0205211E
	v_add3_u32 v248, v30, v248, v251                           // 00000000C1BC: D1FF00F8 07EFF11E
	v_cndmask_b32_e64 v28, v248, v250, s[78:79]                // 00000000C1C4: D100001C 013BF5F8
	v_lshrrev_b32_e32 v28, 16, v28                             // 00000000C1CC: 20383890
	v_cmp_u_f32_e64 s[78:79], v31, v31                         // 00000000C1D0: D048004E 00023F1F
	v_bfe_u32 v248, v31, 16, 1                                 // 00000000C1D8: D1C800F8 0205211F
	v_add3_u32 v248, v31, v248, v251                           // 00000000C1E0: D1FF00F8 07EFF11F
	v_cndmask_b32_e64 v29, v248, v250, s[78:79]                // 00000000C1E8: D100001D 013BF5F8
	v_and_or_b32 v163, v29, v249, v28                          // 00000000C1F0: D20100A3 0473F31D
	v_mov_b32_e32 v30, v176                                    // 00000000C1F8: 7E3C03B0
	v_mov_b32_e32 v31, v177                                    // 00000000C1FC: 7E3E03B1
	v_cmp_u_f32_e64 s[78:79], v30, v30                         // 00000000C200: D048004E 00023D1E
	v_bfe_u32 v248, v30, 16, 1                                 // 00000000C208: D1C800F8 0205211E
	v_add3_u32 v248, v30, v248, v251                           // 00000000C210: D1FF00F8 07EFF11E
	v_cndmask_b32_e64 v28, v248, v250, s[78:79]                // 00000000C218: D100001C 013BF5F8
	v_lshrrev_b32_e32 v28, 16, v28                             // 00000000C220: 20383890
	v_cmp_u_f32_e64 s[78:79], v31, v31                         // 00000000C224: D048004E 00023F1F
	v_bfe_u32 v248, v31, 16, 1                                 // 00000000C22C: D1C800F8 0205211F
	v_add3_u32 v248, v31, v248, v251                           // 00000000C234: D1FF00F8 07EFF11F
	v_cndmask_b32_e64 v29, v248, v250, s[78:79]                // 00000000C23C: D100001D 013BF5F8
	v_and_or_b32 v164, v29, v249, v28                          // 00000000C244: D20100A4 0473F31D
	v_mov_b32_e32 v30, v178                                    // 00000000C24C: 7E3C03B2
	v_mov_b32_e32 v31, v179                                    // 00000000C250: 7E3E03B3
	v_cmp_u_f32_e64 s[78:79], v30, v30                         // 00000000C254: D048004E 00023D1E
	v_bfe_u32 v248, v30, 16, 1                                 // 00000000C25C: D1C800F8 0205211E
	v_add3_u32 v248, v30, v248, v251                           // 00000000C264: D1FF00F8 07EFF11E
	v_cndmask_b32_e64 v28, v248, v250, s[78:79]                // 00000000C26C: D100001C 013BF5F8
	v_lshrrev_b32_e32 v28, 16, v28                             // 00000000C274: 20383890
	v_cmp_u_f32_e64 s[78:79], v31, v31                         // 00000000C278: D048004E 00023F1F
	v_bfe_u32 v248, v31, 16, 1                                 // 00000000C280: D1C800F8 0205211F
	v_add3_u32 v248, v31, v248, v251                           // 00000000C288: D1FF00F8 07EFF11F
	v_cndmask_b32_e64 v29, v248, v250, s[78:79]                // 00000000C290: D100001D 013BF5F8
	v_and_or_b32 v165, v29, v249, v28                          // 00000000C298: D20100A5 0473F31D
	v_mov_b32_e32 v30, v180                                    // 00000000C2A0: 7E3C03B4
	v_mov_b32_e32 v31, v181                                    // 00000000C2A4: 7E3E03B5
	v_cmp_u_f32_e64 s[78:79], v30, v30                         // 00000000C2A8: D048004E 00023D1E
	v_bfe_u32 v248, v30, 16, 1                                 // 00000000C2B0: D1C800F8 0205211E
	v_add3_u32 v248, v30, v248, v251                           // 00000000C2B8: D1FF00F8 07EFF11E
	v_cndmask_b32_e64 v28, v248, v250, s[78:79]                // 00000000C2C0: D100001C 013BF5F8
	v_lshrrev_b32_e32 v28, 16, v28                             // 00000000C2C8: 20383890
	v_cmp_u_f32_e64 s[78:79], v31, v31                         // 00000000C2CC: D048004E 00023F1F
	v_bfe_u32 v248, v31, 16, 1                                 // 00000000C2D4: D1C800F8 0205211F
	v_add3_u32 v248, v31, v248, v251                           // 00000000C2DC: D1FF00F8 07EFF11F
	v_cndmask_b32_e64 v29, v248, v250, s[78:79]                // 00000000C2E4: D100001D 013BF5F8
	v_and_or_b32 v166, v29, v249, v28                          // 00000000C2EC: D20100A6 0473F31D
	v_mov_b32_e32 v30, v182                                    // 00000000C2F4: 7E3C03B6
	v_mov_b32_e32 v31, v183                                    // 00000000C2F8: 7E3E03B7
	v_cmp_u_f32_e64 s[78:79], v30, v30                         // 00000000C2FC: D048004E 00023D1E
	v_bfe_u32 v248, v30, 16, 1                                 // 00000000C304: D1C800F8 0205211E
	v_add3_u32 v248, v30, v248, v251                           // 00000000C30C: D1FF00F8 07EFF11E
	v_cndmask_b32_e64 v28, v248, v250, s[78:79]                // 00000000C314: D100001C 013BF5F8
	v_lshrrev_b32_e32 v28, 16, v28                             // 00000000C31C: 20383890
	v_cmp_u_f32_e64 s[78:79], v31, v31                         // 00000000C320: D048004E 00023F1F
	v_bfe_u32 v248, v31, 16, 1                                 // 00000000C328: D1C800F8 0205211F
	v_add3_u32 v248, v31, v248, v251                           // 00000000C330: D1FF00F8 07EFF11F
	v_cndmask_b32_e64 v29, v248, v250, s[78:79]                // 00000000C338: D100001D 013BF5F8
	v_and_or_b32 v167, v29, v249, v28                          // 00000000C340: D20100A7 0473F31D
	ds_write_b64 v25, v[152:153]                               // 00000000C348: D89A0000 00009819
	ds_write_b64 v25, v[154:155] offset:528                    // 00000000C350: D89A0210 00009A19
	ds_write_b64 v25, v[156:157] offset:1056                   // 00000000C358: D89A0420 00009C19
	ds_write_b64 v25, v[158:159] offset:1584                   // 00000000C360: D89A0630 00009E19
	ds_write_b64 v25, v[160:161] offset:2112                   // 00000000C368: D89A0840 0000A019
	ds_write_b64 v25, v[162:163] offset:2640                   // 00000000C370: D89A0A50 0000A219
	ds_write_b64 v25, v[164:165] offset:3168                   // 00000000C378: D89A0C60 0000A419
	ds_write_b64 v25, v[166:167] offset:3696                   // 00000000C380: D89A0E70 0000A619
	s_waitcnt lgkmcnt(0)                                       // 00000000C388: BF8CC07F
	s_barrier                                                  // 00000000C38C: BF8A0000
	ds_read_b64 v[152:153], v24                                // 00000000C390: D8EC0000 98000018
	ds_read_b64 v[154:155], v24 offset:128                     // 00000000C398: D8EC0080 9A000018
	ds_read_b64 v[156:157], v24 offset:32                      // 00000000C3A0: D8EC0020 9C000018
	ds_read_b64 v[158:159], v24 offset:160                     // 00000000C3A8: D8EC00A0 9E000018
	ds_read_b64 v[160:161], v24 offset:64                      // 00000000C3B0: D8EC0040 A0000018
	ds_read_b64 v[162:163], v24 offset:192                     // 00000000C3B8: D8EC00C0 A2000018
	ds_read_b64 v[164:165], v24 offset:96                      // 00000000C3C0: D8EC0060 A4000018
	ds_read_b64 v[166:167], v24 offset:224                     // 00000000C3C8: D8EC00E0 A6000018
	s_waitcnt lgkmcnt(0)                                       // 00000000C3D0: BF8CC07F
	s_mov_b32 s70, s53                                         // 00000000C3D4: BEC60035
	s_mov_b64 exec, s[82:83]                                   // 00000000C3D8: BEFE0152
	buffer_store_dwordx4 v[152:155], v6, s[40:43], 0 idxen     // 00000000C3DC: E07C2000 800A9806
	s_mov_b32 exec_lo, -1                                      // 00000000C3E4: BEFE00C1
	s_mov_b32 exec_hi, -1                                      // 00000000C3E8: BEFF00C1
	v_add_u32_e32 v6, s70, v6                                  // 00000000C3EC: 680C0C46
	s_mov_b64 exec, s[82:83]                                   // 00000000C3F0: BEFE0152
	buffer_store_dwordx4 v[156:159], v6, s[40:43], 0 idxen     // 00000000C3F4: E07C2000 800A9C06
	s_mov_b32 exec_lo, -1                                      // 00000000C3FC: BEFE00C1
	s_mov_b32 exec_hi, -1                                      // 00000000C400: BEFF00C1
	v_add_u32_e32 v6, s70, v6                                  // 00000000C404: 680C0C46
	s_mov_b64 exec, s[82:83]                                   // 00000000C408: BEFE0152
	buffer_store_dwordx4 v[160:163], v6, s[40:43], 0 idxen     // 00000000C40C: E07C2000 800AA006
	s_mov_b32 exec_lo, -1                                      // 00000000C414: BEFE00C1
	s_mov_b32 exec_hi, -1                                      // 00000000C418: BEFF00C1
	v_add_u32_e32 v6, s70, v6                                  // 00000000C41C: 680C0C46
	s_mov_b64 exec, s[82:83]                                   // 00000000C420: BEFE0152
	buffer_store_dwordx4 v[164:167], v6, s[40:43], 0 idxen     // 00000000C424: E07C2000 800AA406
	s_mov_b32 exec_lo, -1                                      // 00000000C42C: BEFE00C1
	s_mov_b32 exec_hi, -1                                      // 00000000C430: BEFF00C1
	v_add_u32_e32 v6, s70, v6                                  // 00000000C434: 680C0C46
	s_mul_i32 s60, 12, s70                                     // 00000000C438: 923C468C
	v_add_u32_e32 v6, s60, v6                                  // 00000000C43C: 680C0C3C
	s_cmp_ge_i32 1, s72                                        // 00000000C440: BF034881
	s_cbranch_scc1 label_24C6                                  // 00000000C444: BF850320
	v_mov_b32_e32 v30, v184                                    // 00000000C448: 7E3C03B8
	v_mov_b32_e32 v31, v185                                    // 00000000C44C: 7E3E03B9
	v_cmp_u_f32_e64 s[78:79], v30, v30                         // 00000000C450: D048004E 00023D1E
	v_bfe_u32 v248, v30, 16, 1                                 // 00000000C458: D1C800F8 0205211E
	v_add3_u32 v248, v30, v248, v251                           // 00000000C460: D1FF00F8 07EFF11E
	v_cndmask_b32_e64 v28, v248, v250, s[78:79]                // 00000000C468: D100001C 013BF5F8
	v_lshrrev_b32_e32 v28, 16, v28                             // 00000000C470: 20383890
	v_cmp_u_f32_e64 s[78:79], v31, v31                         // 00000000C474: D048004E 00023F1F
	v_bfe_u32 v248, v31, 16, 1                                 // 00000000C47C: D1C800F8 0205211F
	v_add3_u32 v248, v31, v248, v251                           // 00000000C484: D1FF00F8 07EFF11F
	v_cndmask_b32_e64 v29, v248, v250, s[78:79]                // 00000000C48C: D100001D 013BF5F8
	v_and_or_b32 v168, v29, v249, v28                          // 00000000C494: D20100A8 0473F31D
	v_mov_b32_e32 v30, v186                                    // 00000000C49C: 7E3C03BA
	v_mov_b32_e32 v31, v187                                    // 00000000C4A0: 7E3E03BB
	v_cmp_u_f32_e64 s[78:79], v30, v30                         // 00000000C4A4: D048004E 00023D1E
	v_bfe_u32 v248, v30, 16, 1                                 // 00000000C4AC: D1C800F8 0205211E
	v_add3_u32 v248, v30, v248, v251                           // 00000000C4B4: D1FF00F8 07EFF11E
	v_cndmask_b32_e64 v28, v248, v250, s[78:79]                // 00000000C4BC: D100001C 013BF5F8
	v_lshrrev_b32_e32 v28, 16, v28                             // 00000000C4C4: 20383890
	v_cmp_u_f32_e64 s[78:79], v31, v31                         // 00000000C4C8: D048004E 00023F1F
	v_bfe_u32 v248, v31, 16, 1                                 // 00000000C4D0: D1C800F8 0205211F
	v_add3_u32 v248, v31, v248, v251                           // 00000000C4D8: D1FF00F8 07EFF11F
	v_cndmask_b32_e64 v29, v248, v250, s[78:79]                // 00000000C4E0: D100001D 013BF5F8
	v_and_or_b32 v169, v29, v249, v28                          // 00000000C4E8: D20100A9 0473F31D
	v_mov_b32_e32 v30, v188                                    // 00000000C4F0: 7E3C03BC
	v_mov_b32_e32 v31, v189                                    // 00000000C4F4: 7E3E03BD
	v_cmp_u_f32_e64 s[78:79], v30, v30                         // 00000000C4F8: D048004E 00023D1E
	v_bfe_u32 v248, v30, 16, 1                                 // 00000000C500: D1C800F8 0205211E
	v_add3_u32 v248, v30, v248, v251                           // 00000000C508: D1FF00F8 07EFF11E
	v_cndmask_b32_e64 v28, v248, v250, s[78:79]                // 00000000C510: D100001C 013BF5F8
	v_lshrrev_b32_e32 v28, 16, v28                             // 00000000C518: 20383890
	v_cmp_u_f32_e64 s[78:79], v31, v31                         // 00000000C51C: D048004E 00023F1F
	v_bfe_u32 v248, v31, 16, 1                                 // 00000000C524: D1C800F8 0205211F
	v_add3_u32 v248, v31, v248, v251                           // 00000000C52C: D1FF00F8 07EFF11F
	v_cndmask_b32_e64 v29, v248, v250, s[78:79]                // 00000000C534: D100001D 013BF5F8
	v_and_or_b32 v170, v29, v249, v28                          // 00000000C53C: D20100AA 0473F31D
	v_mov_b32_e32 v30, v190                                    // 00000000C544: 7E3C03BE
	v_mov_b32_e32 v31, v191                                    // 00000000C548: 7E3E03BF
	v_cmp_u_f32_e64 s[78:79], v30, v30                         // 00000000C54C: D048004E 00023D1E
	v_bfe_u32 v248, v30, 16, 1                                 // 00000000C554: D1C800F8 0205211E
	v_add3_u32 v248, v30, v248, v251                           // 00000000C55C: D1FF00F8 07EFF11E
	v_cndmask_b32_e64 v28, v248, v250, s[78:79]                // 00000000C564: D100001C 013BF5F8
	v_lshrrev_b32_e32 v28, 16, v28                             // 00000000C56C: 20383890
	v_cmp_u_f32_e64 s[78:79], v31, v31                         // 00000000C570: D048004E 00023F1F
	v_bfe_u32 v248, v31, 16, 1                                 // 00000000C578: D1C800F8 0205211F
	v_add3_u32 v248, v31, v248, v251                           // 00000000C580: D1FF00F8 07EFF11F
	v_cndmask_b32_e64 v29, v248, v250, s[78:79]                // 00000000C588: D100001D 013BF5F8
	v_and_or_b32 v171, v29, v249, v28                          // 00000000C590: D20100AB 0473F31D
	v_mov_b32_e32 v30, v192                                    // 00000000C598: 7E3C03C0
	v_mov_b32_e32 v31, v193                                    // 00000000C59C: 7E3E03C1
	v_cmp_u_f32_e64 s[78:79], v30, v30                         // 00000000C5A0: D048004E 00023D1E
	v_bfe_u32 v248, v30, 16, 1                                 // 00000000C5A8: D1C800F8 0205211E
	v_add3_u32 v248, v30, v248, v251                           // 00000000C5B0: D1FF00F8 07EFF11E
	v_cndmask_b32_e64 v28, v248, v250, s[78:79]                // 00000000C5B8: D100001C 013BF5F8
	v_lshrrev_b32_e32 v28, 16, v28                             // 00000000C5C0: 20383890
	v_cmp_u_f32_e64 s[78:79], v31, v31                         // 00000000C5C4: D048004E 00023F1F
	v_bfe_u32 v248, v31, 16, 1                                 // 00000000C5CC: D1C800F8 0205211F
	v_add3_u32 v248, v31, v248, v251                           // 00000000C5D4: D1FF00F8 07EFF11F
	v_cndmask_b32_e64 v29, v248, v250, s[78:79]                // 00000000C5DC: D100001D 013BF5F8
	v_and_or_b32 v172, v29, v249, v28                          // 00000000C5E4: D20100AC 0473F31D
	v_mov_b32_e32 v30, v194                                    // 00000000C5EC: 7E3C03C2
	v_mov_b32_e32 v31, v195                                    // 00000000C5F0: 7E3E03C3
	v_cmp_u_f32_e64 s[78:79], v30, v30                         // 00000000C5F4: D048004E 00023D1E
	v_bfe_u32 v248, v30, 16, 1                                 // 00000000C5FC: D1C800F8 0205211E
	v_add3_u32 v248, v30, v248, v251                           // 00000000C604: D1FF00F8 07EFF11E
	v_cndmask_b32_e64 v28, v248, v250, s[78:79]                // 00000000C60C: D100001C 013BF5F8
	v_lshrrev_b32_e32 v28, 16, v28                             // 00000000C614: 20383890
	v_cmp_u_f32_e64 s[78:79], v31, v31                         // 00000000C618: D048004E 00023F1F
	v_bfe_u32 v248, v31, 16, 1                                 // 00000000C620: D1C800F8 0205211F
	v_add3_u32 v248, v31, v248, v251                           // 00000000C628: D1FF00F8 07EFF11F
	v_cndmask_b32_e64 v29, v248, v250, s[78:79]                // 00000000C630: D100001D 013BF5F8
	v_and_or_b32 v173, v29, v249, v28                          // 00000000C638: D20100AD 0473F31D
	v_mov_b32_e32 v30, v196                                    // 00000000C640: 7E3C03C4
	v_mov_b32_e32 v31, v197                                    // 00000000C644: 7E3E03C5
	v_cmp_u_f32_e64 s[78:79], v30, v30                         // 00000000C648: D048004E 00023D1E
	v_bfe_u32 v248, v30, 16, 1                                 // 00000000C650: D1C800F8 0205211E
	v_add3_u32 v248, v30, v248, v251                           // 00000000C658: D1FF00F8 07EFF11E
	v_cndmask_b32_e64 v28, v248, v250, s[78:79]                // 00000000C660: D100001C 013BF5F8
	v_lshrrev_b32_e32 v28, 16, v28                             // 00000000C668: 20383890
	v_cmp_u_f32_e64 s[78:79], v31, v31                         // 00000000C66C: D048004E 00023F1F
	v_bfe_u32 v248, v31, 16, 1                                 // 00000000C674: D1C800F8 0205211F
	v_add3_u32 v248, v31, v248, v251                           // 00000000C67C: D1FF00F8 07EFF11F
	v_cndmask_b32_e64 v29, v248, v250, s[78:79]                // 00000000C684: D100001D 013BF5F8
	v_and_or_b32 v174, v29, v249, v28                          // 00000000C68C: D20100AE 0473F31D
	v_mov_b32_e32 v30, v198                                    // 00000000C694: 7E3C03C6
	v_mov_b32_e32 v31, v199                                    // 00000000C698: 7E3E03C7
	v_cmp_u_f32_e64 s[78:79], v30, v30                         // 00000000C69C: D048004E 00023D1E
	v_bfe_u32 v248, v30, 16, 1                                 // 00000000C6A4: D1C800F8 0205211E
	v_add3_u32 v248, v30, v248, v251                           // 00000000C6AC: D1FF00F8 07EFF11E
	v_cndmask_b32_e64 v28, v248, v250, s[78:79]                // 00000000C6B4: D100001C 013BF5F8
	v_lshrrev_b32_e32 v28, 16, v28                             // 00000000C6BC: 20383890
	v_cmp_u_f32_e64 s[78:79], v31, v31                         // 00000000C6C0: D048004E 00023F1F
	v_bfe_u32 v248, v31, 16, 1                                 // 00000000C6C8: D1C800F8 0205211F
	v_add3_u32 v248, v31, v248, v251                           // 00000000C6D0: D1FF00F8 07EFF11F
	v_cndmask_b32_e64 v29, v248, v250, s[78:79]                // 00000000C6D8: D100001D 013BF5F8
	v_and_or_b32 v175, v29, v249, v28                          // 00000000C6E0: D20100AF 0473F31D
	v_mov_b32_e32 v30, v200                                    // 00000000C6E8: 7E3C03C8
	v_mov_b32_e32 v31, v201                                    // 00000000C6EC: 7E3E03C9
	v_cmp_u_f32_e64 s[78:79], v30, v30                         // 00000000C6F0: D048004E 00023D1E
	v_bfe_u32 v248, v30, 16, 1                                 // 00000000C6F8: D1C800F8 0205211E
	v_add3_u32 v248, v30, v248, v251                           // 00000000C700: D1FF00F8 07EFF11E
	v_cndmask_b32_e64 v28, v248, v250, s[78:79]                // 00000000C708: D100001C 013BF5F8
	v_lshrrev_b32_e32 v28, 16, v28                             // 00000000C710: 20383890
	v_cmp_u_f32_e64 s[78:79], v31, v31                         // 00000000C714: D048004E 00023F1F
	v_bfe_u32 v248, v31, 16, 1                                 // 00000000C71C: D1C800F8 0205211F
	v_add3_u32 v248, v31, v248, v251                           // 00000000C724: D1FF00F8 07EFF11F
	v_cndmask_b32_e64 v29, v248, v250, s[78:79]                // 00000000C72C: D100001D 013BF5F8
	v_and_or_b32 v176, v29, v249, v28                          // 00000000C734: D20100B0 0473F31D
	v_mov_b32_e32 v30, v202                                    // 00000000C73C: 7E3C03CA
	v_mov_b32_e32 v31, v203                                    // 00000000C740: 7E3E03CB
	v_cmp_u_f32_e64 s[78:79], v30, v30                         // 00000000C744: D048004E 00023D1E
	v_bfe_u32 v248, v30, 16, 1                                 // 00000000C74C: D1C800F8 0205211E
	v_add3_u32 v248, v30, v248, v251                           // 00000000C754: D1FF00F8 07EFF11E
	v_cndmask_b32_e64 v28, v248, v250, s[78:79]                // 00000000C75C: D100001C 013BF5F8
	v_lshrrev_b32_e32 v28, 16, v28                             // 00000000C764: 20383890
	v_cmp_u_f32_e64 s[78:79], v31, v31                         // 00000000C768: D048004E 00023F1F
	v_bfe_u32 v248, v31, 16, 1                                 // 00000000C770: D1C800F8 0205211F
	v_add3_u32 v248, v31, v248, v251                           // 00000000C778: D1FF00F8 07EFF11F
	v_cndmask_b32_e64 v29, v248, v250, s[78:79]                // 00000000C780: D100001D 013BF5F8
	v_and_or_b32 v177, v29, v249, v28                          // 00000000C788: D20100B1 0473F31D
	v_mov_b32_e32 v30, v204                                    // 00000000C790: 7E3C03CC
	v_mov_b32_e32 v31, v205                                    // 00000000C794: 7E3E03CD
	v_cmp_u_f32_e64 s[78:79], v30, v30                         // 00000000C798: D048004E 00023D1E
	v_bfe_u32 v248, v30, 16, 1                                 // 00000000C7A0: D1C800F8 0205211E
	v_add3_u32 v248, v30, v248, v251                           // 00000000C7A8: D1FF00F8 07EFF11E
	v_cndmask_b32_e64 v28, v248, v250, s[78:79]                // 00000000C7B0: D100001C 013BF5F8
	v_lshrrev_b32_e32 v28, 16, v28                             // 00000000C7B8: 20383890
	v_cmp_u_f32_e64 s[78:79], v31, v31                         // 00000000C7BC: D048004E 00023F1F
	v_bfe_u32 v248, v31, 16, 1                                 // 00000000C7C4: D1C800F8 0205211F
	v_add3_u32 v248, v31, v248, v251                           // 00000000C7CC: D1FF00F8 07EFF11F
	v_cndmask_b32_e64 v29, v248, v250, s[78:79]                // 00000000C7D4: D100001D 013BF5F8
	v_and_or_b32 v178, v29, v249, v28                          // 00000000C7DC: D20100B2 0473F31D
	v_mov_b32_e32 v30, v206                                    // 00000000C7E4: 7E3C03CE
	v_mov_b32_e32 v31, v207                                    // 00000000C7E8: 7E3E03CF
	v_cmp_u_f32_e64 s[78:79], v30, v30                         // 00000000C7EC: D048004E 00023D1E
	v_bfe_u32 v248, v30, 16, 1                                 // 00000000C7F4: D1C800F8 0205211E
	v_add3_u32 v248, v30, v248, v251                           // 00000000C7FC: D1FF00F8 07EFF11E
	v_cndmask_b32_e64 v28, v248, v250, s[78:79]                // 00000000C804: D100001C 013BF5F8
	v_lshrrev_b32_e32 v28, 16, v28                             // 00000000C80C: 20383890
	v_cmp_u_f32_e64 s[78:79], v31, v31                         // 00000000C810: D048004E 00023F1F
	v_bfe_u32 v248, v31, 16, 1                                 // 00000000C818: D1C800F8 0205211F
	v_add3_u32 v248, v31, v248, v251                           // 00000000C820: D1FF00F8 07EFF11F
	v_cndmask_b32_e64 v29, v248, v250, s[78:79]                // 00000000C828: D100001D 013BF5F8
	v_and_or_b32 v179, v29, v249, v28                          // 00000000C830: D20100B3 0473F31D
	v_mov_b32_e32 v30, v208                                    // 00000000C838: 7E3C03D0
	v_mov_b32_e32 v31, v209                                    // 00000000C83C: 7E3E03D1
	v_cmp_u_f32_e64 s[78:79], v30, v30                         // 00000000C840: D048004E 00023D1E
	v_bfe_u32 v248, v30, 16, 1                                 // 00000000C848: D1C800F8 0205211E
	v_add3_u32 v248, v30, v248, v251                           // 00000000C850: D1FF00F8 07EFF11E
	v_cndmask_b32_e64 v28, v248, v250, s[78:79]                // 00000000C858: D100001C 013BF5F8
	v_lshrrev_b32_e32 v28, 16, v28                             // 00000000C860: 20383890
	v_cmp_u_f32_e64 s[78:79], v31, v31                         // 00000000C864: D048004E 00023F1F
	v_bfe_u32 v248, v31, 16, 1                                 // 00000000C86C: D1C800F8 0205211F
	v_add3_u32 v248, v31, v248, v251                           // 00000000C874: D1FF00F8 07EFF11F
	v_cndmask_b32_e64 v29, v248, v250, s[78:79]                // 00000000C87C: D100001D 013BF5F8
	v_and_or_b32 v180, v29, v249, v28                          // 00000000C884: D20100B4 0473F31D
	v_mov_b32_e32 v30, v210                                    // 00000000C88C: 7E3C03D2
	v_mov_b32_e32 v31, v211                                    // 00000000C890: 7E3E03D3
	v_cmp_u_f32_e64 s[78:79], v30, v30                         // 00000000C894: D048004E 00023D1E
	v_bfe_u32 v248, v30, 16, 1                                 // 00000000C89C: D1C800F8 0205211E
	v_add3_u32 v248, v30, v248, v251                           // 00000000C8A4: D1FF00F8 07EFF11E
	v_cndmask_b32_e64 v28, v248, v250, s[78:79]                // 00000000C8AC: D100001C 013BF5F8
	v_lshrrev_b32_e32 v28, 16, v28                             // 00000000C8B4: 20383890
	v_cmp_u_f32_e64 s[78:79], v31, v31                         // 00000000C8B8: D048004E 00023F1F
	v_bfe_u32 v248, v31, 16, 1                                 // 00000000C8C0: D1C800F8 0205211F
	v_add3_u32 v248, v31, v248, v251                           // 00000000C8C8: D1FF00F8 07EFF11F
	v_cndmask_b32_e64 v29, v248, v250, s[78:79]                // 00000000C8D0: D100001D 013BF5F8
	v_and_or_b32 v181, v29, v249, v28                          // 00000000C8D8: D20100B5 0473F31D
	v_mov_b32_e32 v30, v212                                    // 00000000C8E0: 7E3C03D4
	v_mov_b32_e32 v31, v213                                    // 00000000C8E4: 7E3E03D5
	v_cmp_u_f32_e64 s[78:79], v30, v30                         // 00000000C8E8: D048004E 00023D1E
	v_bfe_u32 v248, v30, 16, 1                                 // 00000000C8F0: D1C800F8 0205211E
	v_add3_u32 v248, v30, v248, v251                           // 00000000C8F8: D1FF00F8 07EFF11E
	v_cndmask_b32_e64 v28, v248, v250, s[78:79]                // 00000000C900: D100001C 013BF5F8
	v_lshrrev_b32_e32 v28, 16, v28                             // 00000000C908: 20383890
	v_cmp_u_f32_e64 s[78:79], v31, v31                         // 00000000C90C: D048004E 00023F1F
	v_bfe_u32 v248, v31, 16, 1                                 // 00000000C914: D1C800F8 0205211F
	v_add3_u32 v248, v31, v248, v251                           // 00000000C91C: D1FF00F8 07EFF11F
	v_cndmask_b32_e64 v29, v248, v250, s[78:79]                // 00000000C924: D100001D 013BF5F8
	v_and_or_b32 v182, v29, v249, v28                          // 00000000C92C: D20100B6 0473F31D
	v_mov_b32_e32 v30, v214                                    // 00000000C934: 7E3C03D6
	v_mov_b32_e32 v31, v215                                    // 00000000C938: 7E3E03D7
	v_cmp_u_f32_e64 s[78:79], v30, v30                         // 00000000C93C: D048004E 00023D1E
	v_bfe_u32 v248, v30, 16, 1                                 // 00000000C944: D1C800F8 0205211E
	v_add3_u32 v248, v30, v248, v251                           // 00000000C94C: D1FF00F8 07EFF11E
	v_cndmask_b32_e64 v28, v248, v250, s[78:79]                // 00000000C954: D100001C 013BF5F8
	v_lshrrev_b32_e32 v28, 16, v28                             // 00000000C95C: 20383890
	v_cmp_u_f32_e64 s[78:79], v31, v31                         // 00000000C960: D048004E 00023F1F
	v_bfe_u32 v248, v31, 16, 1                                 // 00000000C968: D1C800F8 0205211F
	v_add3_u32 v248, v31, v248, v251                           // 00000000C970: D1FF00F8 07EFF11F
	v_cndmask_b32_e64 v29, v248, v250, s[78:79]                // 00000000C978: D100001D 013BF5F8
	v_and_or_b32 v183, v29, v249, v28                          // 00000000C980: D20100B7 0473F31D
	ds_write_b64 v25, v[168:169] offset:16896                  // 00000000C988: D89A4200 0000A819
	ds_write_b64 v25, v[170:171] offset:17424                  // 00000000C990: D89A4410 0000AA19
	ds_write_b64 v25, v[172:173] offset:17952                  // 00000000C998: D89A4620 0000AC19
	ds_write_b64 v25, v[174:175] offset:18480                  // 00000000C9A0: D89A4830 0000AE19
	ds_write_b64 v25, v[176:177] offset:19008                  // 00000000C9A8: D89A4A40 0000B019
	ds_write_b64 v25, v[178:179] offset:19536                  // 00000000C9B0: D89A4C50 0000B219
	ds_write_b64 v25, v[180:181] offset:20064                  // 00000000C9B8: D89A4E60 0000B419
	ds_write_b64 v25, v[182:183] offset:20592                  // 00000000C9C0: D89A5070 0000B619
	s_waitcnt lgkmcnt(0)                                       // 00000000C9C8: BF8CC07F
	s_barrier                                                  // 00000000C9CC: BF8A0000
	ds_read_b64 v[168:169], v24 offset:16896                   // 00000000C9D0: D8EC4200 A8000018
	ds_read_b64 v[170:171], v24 offset:17024                   // 00000000C9D8: D8EC4280 AA000018
	ds_read_b64 v[172:173], v24 offset:16928                   // 00000000C9E0: D8EC4220 AC000018
	ds_read_b64 v[174:175], v24 offset:17056                   // 00000000C9E8: D8EC42A0 AE000018
	ds_read_b64 v[176:177], v24 offset:16960                   // 00000000C9F0: D8EC4240 B0000018
	ds_read_b64 v[178:179], v24 offset:17088                   // 00000000C9F8: D8EC42C0 B2000018
	ds_read_b64 v[180:181], v24 offset:16992                   // 00000000CA00: D8EC4260 B4000018
	ds_read_b64 v[182:183], v24 offset:17120                   // 00000000CA08: D8EC42E0 B6000018
	s_waitcnt lgkmcnt(0)                                       // 00000000CA10: BF8CC07F
	s_mov_b32 s70, s53                                         // 00000000CA14: BEC60035
	s_mov_b64 exec, s[82:83]                                   // 00000000CA18: BEFE0152
	buffer_store_dwordx4 v[168:171], v6, s[40:43], 0 idxen     // 00000000CA1C: E07C2000 800AA806
	s_mov_b32 exec_lo, -1                                      // 00000000CA24: BEFE00C1
	s_mov_b32 exec_hi, -1                                      // 00000000CA28: BEFF00C1
	v_add_u32_e32 v6, s70, v6                                  // 00000000CA2C: 680C0C46
	s_mov_b64 exec, s[82:83]                                   // 00000000CA30: BEFE0152
	buffer_store_dwordx4 v[172:175], v6, s[40:43], 0 idxen     // 00000000CA34: E07C2000 800AAC06
	s_mov_b32 exec_lo, -1                                      // 00000000CA3C: BEFE00C1
	s_mov_b32 exec_hi, -1                                      // 00000000CA40: BEFF00C1
	v_add_u32_e32 v6, s70, v6                                  // 00000000CA44: 680C0C46
	s_mov_b64 exec, s[82:83]                                   // 00000000CA48: BEFE0152
	buffer_store_dwordx4 v[176:179], v6, s[40:43], 0 idxen     // 00000000CA4C: E07C2000 800AB006
	s_mov_b32 exec_lo, -1                                      // 00000000CA54: BEFE00C1
	s_mov_b32 exec_hi, -1                                      // 00000000CA58: BEFF00C1
	v_add_u32_e32 v6, s70, v6                                  // 00000000CA5C: 680C0C46
	s_mov_b64 exec, s[82:83]                                   // 00000000CA60: BEFE0152
	buffer_store_dwordx4 v[180:183], v6, s[40:43], 0 idxen     // 00000000CA64: E07C2000 800AB406
	s_mov_b32 exec_lo, -1                                      // 00000000CA6C: BEFE00C1
	s_mov_b32 exec_hi, -1                                      // 00000000CA70: BEFF00C1
	v_add_u32_e32 v6, s70, v6                                  // 00000000CA74: 680C0C46
	s_mul_i32 s60, 12, s70                                     // 00000000CA78: 923C468C
	v_add_u32_e32 v6, s60, v6                                  // 00000000CA7C: 680C0C3C
	s_cmp_ge_i32 2, s72                                        // 00000000CA80: BF034882
	s_cbranch_scc1 label_24C6                                  // 00000000CA84: BF850190
	v_mov_b32_e32 v30, v216                                    // 00000000CA88: 7E3C03D8
	v_mov_b32_e32 v31, v217                                    // 00000000CA8C: 7E3E03D9
	v_cmp_u_f32_e64 s[78:79], v30, v30                         // 00000000CA90: D048004E 00023D1E
	v_bfe_u32 v248, v30, 16, 1                                 // 00000000CA98: D1C800F8 0205211E
	v_add3_u32 v248, v30, v248, v251                           // 00000000CAA0: D1FF00F8 07EFF11E
	v_cndmask_b32_e64 v28, v248, v250, s[78:79]                // 00000000CAA8: D100001C 013BF5F8
	v_lshrrev_b32_e32 v28, 16, v28                             // 00000000CAB0: 20383890
	v_cmp_u_f32_e64 s[78:79], v31, v31                         // 00000000CAB4: D048004E 00023F1F
	v_bfe_u32 v248, v31, 16, 1                                 // 00000000CABC: D1C800F8 0205211F
	v_add3_u32 v248, v31, v248, v251                           // 00000000CAC4: D1FF00F8 07EFF11F
	v_cndmask_b32_e64 v29, v248, v250, s[78:79]                // 00000000CACC: D100001D 013BF5F8
	v_and_or_b32 v184, v29, v249, v28                          // 00000000CAD4: D20100B8 0473F31D
	v_mov_b32_e32 v30, v218                                    // 00000000CADC: 7E3C03DA
	v_mov_b32_e32 v31, v219                                    // 00000000CAE0: 7E3E03DB
	v_cmp_u_f32_e64 s[78:79], v30, v30                         // 00000000CAE4: D048004E 00023D1E
	v_bfe_u32 v248, v30, 16, 1                                 // 00000000CAEC: D1C800F8 0205211E
	v_add3_u32 v248, v30, v248, v251                           // 00000000CAF4: D1FF00F8 07EFF11E
	v_cndmask_b32_e64 v28, v248, v250, s[78:79]                // 00000000CAFC: D100001C 013BF5F8
	v_lshrrev_b32_e32 v28, 16, v28                             // 00000000CB04: 20383890
	v_cmp_u_f32_e64 s[78:79], v31, v31                         // 00000000CB08: D048004E 00023F1F
	v_bfe_u32 v248, v31, 16, 1                                 // 00000000CB10: D1C800F8 0205211F
	v_add3_u32 v248, v31, v248, v251                           // 00000000CB18: D1FF00F8 07EFF11F
	v_cndmask_b32_e64 v29, v248, v250, s[78:79]                // 00000000CB20: D100001D 013BF5F8
	v_and_or_b32 v185, v29, v249, v28                          // 00000000CB28: D20100B9 0473F31D
	v_mov_b32_e32 v30, v220                                    // 00000000CB30: 7E3C03DC
	v_mov_b32_e32 v31, v221                                    // 00000000CB34: 7E3E03DD
	v_cmp_u_f32_e64 s[78:79], v30, v30                         // 00000000CB38: D048004E 00023D1E
	v_bfe_u32 v248, v30, 16, 1                                 // 00000000CB40: D1C800F8 0205211E
	v_add3_u32 v248, v30, v248, v251                           // 00000000CB48: D1FF00F8 07EFF11E
	v_cndmask_b32_e64 v28, v248, v250, s[78:79]                // 00000000CB50: D100001C 013BF5F8
	v_lshrrev_b32_e32 v28, 16, v28                             // 00000000CB58: 20383890
	v_cmp_u_f32_e64 s[78:79], v31, v31                         // 00000000CB5C: D048004E 00023F1F
	v_bfe_u32 v248, v31, 16, 1                                 // 00000000CB64: D1C800F8 0205211F
	v_add3_u32 v248, v31, v248, v251                           // 00000000CB6C: D1FF00F8 07EFF11F
	v_cndmask_b32_e64 v29, v248, v250, s[78:79]                // 00000000CB74: D100001D 013BF5F8
	v_and_or_b32 v186, v29, v249, v28                          // 00000000CB7C: D20100BA 0473F31D
	v_mov_b32_e32 v30, v222                                    // 00000000CB84: 7E3C03DE
	v_mov_b32_e32 v31, v223                                    // 00000000CB88: 7E3E03DF
	v_cmp_u_f32_e64 s[78:79], v30, v30                         // 00000000CB8C: D048004E 00023D1E
	v_bfe_u32 v248, v30, 16, 1                                 // 00000000CB94: D1C800F8 0205211E
	v_add3_u32 v248, v30, v248, v251                           // 00000000CB9C: D1FF00F8 07EFF11E
	v_cndmask_b32_e64 v28, v248, v250, s[78:79]                // 00000000CBA4: D100001C 013BF5F8
	v_lshrrev_b32_e32 v28, 16, v28                             // 00000000CBAC: 20383890
	v_cmp_u_f32_e64 s[78:79], v31, v31                         // 00000000CBB0: D048004E 00023F1F
	v_bfe_u32 v248, v31, 16, 1                                 // 00000000CBB8: D1C800F8 0205211F
	v_add3_u32 v248, v31, v248, v251                           // 00000000CBC0: D1FF00F8 07EFF11F
	v_cndmask_b32_e64 v29, v248, v250, s[78:79]                // 00000000CBC8: D100001D 013BF5F8
	v_and_or_b32 v187, v29, v249, v28                          // 00000000CBD0: D20100BB 0473F31D
	v_mov_b32_e32 v30, v224                                    // 00000000CBD8: 7E3C03E0
	v_mov_b32_e32 v31, v225                                    // 00000000CBDC: 7E3E03E1
	v_cmp_u_f32_e64 s[78:79], v30, v30                         // 00000000CBE0: D048004E 00023D1E
	v_bfe_u32 v248, v30, 16, 1                                 // 00000000CBE8: D1C800F8 0205211E
	v_add3_u32 v248, v30, v248, v251                           // 00000000CBF0: D1FF00F8 07EFF11E
	v_cndmask_b32_e64 v28, v248, v250, s[78:79]                // 00000000CBF8: D100001C 013BF5F8
	v_lshrrev_b32_e32 v28, 16, v28                             // 00000000CC00: 20383890
	v_cmp_u_f32_e64 s[78:79], v31, v31                         // 00000000CC04: D048004E 00023F1F
	v_bfe_u32 v248, v31, 16, 1                                 // 00000000CC0C: D1C800F8 0205211F
	v_add3_u32 v248, v31, v248, v251                           // 00000000CC14: D1FF00F8 07EFF11F
	v_cndmask_b32_e64 v29, v248, v250, s[78:79]                // 00000000CC1C: D100001D 013BF5F8
	v_and_or_b32 v188, v29, v249, v28                          // 00000000CC24: D20100BC 0473F31D
	v_mov_b32_e32 v30, v226                                    // 00000000CC2C: 7E3C03E2
	v_mov_b32_e32 v31, v227                                    // 00000000CC30: 7E3E03E3
	v_cmp_u_f32_e64 s[78:79], v30, v30                         // 00000000CC34: D048004E 00023D1E
	v_bfe_u32 v248, v30, 16, 1                                 // 00000000CC3C: D1C800F8 0205211E
	v_add3_u32 v248, v30, v248, v251                           // 00000000CC44: D1FF00F8 07EFF11E
	v_cndmask_b32_e64 v28, v248, v250, s[78:79]                // 00000000CC4C: D100001C 013BF5F8
	v_lshrrev_b32_e32 v28, 16, v28                             // 00000000CC54: 20383890
	v_cmp_u_f32_e64 s[78:79], v31, v31                         // 00000000CC58: D048004E 00023F1F
	v_bfe_u32 v248, v31, 16, 1                                 // 00000000CC60: D1C800F8 0205211F
	v_add3_u32 v248, v31, v248, v251                           // 00000000CC68: D1FF00F8 07EFF11F
	v_cndmask_b32_e64 v29, v248, v250, s[78:79]                // 00000000CC70: D100001D 013BF5F8
	v_and_or_b32 v189, v29, v249, v28                          // 00000000CC78: D20100BD 0473F31D
	v_mov_b32_e32 v30, v228                                    // 00000000CC80: 7E3C03E4
	v_mov_b32_e32 v31, v229                                    // 00000000CC84: 7E3E03E5
	v_cmp_u_f32_e64 s[78:79], v30, v30                         // 00000000CC88: D048004E 00023D1E
	v_bfe_u32 v248, v30, 16, 1                                 // 00000000CC90: D1C800F8 0205211E
	v_add3_u32 v248, v30, v248, v251                           // 00000000CC98: D1FF00F8 07EFF11E
	v_cndmask_b32_e64 v28, v248, v250, s[78:79]                // 00000000CCA0: D100001C 013BF5F8
	v_lshrrev_b32_e32 v28, 16, v28                             // 00000000CCA8: 20383890
	v_cmp_u_f32_e64 s[78:79], v31, v31                         // 00000000CCAC: D048004E 00023F1F
	v_bfe_u32 v248, v31, 16, 1                                 // 00000000CCB4: D1C800F8 0205211F
	v_add3_u32 v248, v31, v248, v251                           // 00000000CCBC: D1FF00F8 07EFF11F
	v_cndmask_b32_e64 v29, v248, v250, s[78:79]                // 00000000CCC4: D100001D 013BF5F8
	v_and_or_b32 v190, v29, v249, v28                          // 00000000CCCC: D20100BE 0473F31D
	v_mov_b32_e32 v30, v230                                    // 00000000CCD4: 7E3C03E6
	v_mov_b32_e32 v31, v231                                    // 00000000CCD8: 7E3E03E7
	v_cmp_u_f32_e64 s[78:79], v30, v30                         // 00000000CCDC: D048004E 00023D1E
	v_bfe_u32 v248, v30, 16, 1                                 // 00000000CCE4: D1C800F8 0205211E
	v_add3_u32 v248, v30, v248, v251                           // 00000000CCEC: D1FF00F8 07EFF11E
	v_cndmask_b32_e64 v28, v248, v250, s[78:79]                // 00000000CCF4: D100001C 013BF5F8
	v_lshrrev_b32_e32 v28, 16, v28                             // 00000000CCFC: 20383890
	v_cmp_u_f32_e64 s[78:79], v31, v31                         // 00000000CD00: D048004E 00023F1F
	v_bfe_u32 v248, v31, 16, 1                                 // 00000000CD08: D1C800F8 0205211F
	v_add3_u32 v248, v31, v248, v251                           // 00000000CD10: D1FF00F8 07EFF11F
	v_cndmask_b32_e64 v29, v248, v250, s[78:79]                // 00000000CD18: D100001D 013BF5F8
	v_and_or_b32 v191, v29, v249, v28                          // 00000000CD20: D20100BF 0473F31D
	v_mov_b32_e32 v30, v232                                    // 00000000CD28: 7E3C03E8
	v_mov_b32_e32 v31, v233                                    // 00000000CD2C: 7E3E03E9
	v_cmp_u_f32_e64 s[78:79], v30, v30                         // 00000000CD30: D048004E 00023D1E
	v_bfe_u32 v248, v30, 16, 1                                 // 00000000CD38: D1C800F8 0205211E
	v_add3_u32 v248, v30, v248, v251                           // 00000000CD40: D1FF00F8 07EFF11E
	v_cndmask_b32_e64 v28, v248, v250, s[78:79]                // 00000000CD48: D100001C 013BF5F8
	v_lshrrev_b32_e32 v28, 16, v28                             // 00000000CD50: 20383890
	v_cmp_u_f32_e64 s[78:79], v31, v31                         // 00000000CD54: D048004E 00023F1F
	v_bfe_u32 v248, v31, 16, 1                                 // 00000000CD5C: D1C800F8 0205211F
	v_add3_u32 v248, v31, v248, v251                           // 00000000CD64: D1FF00F8 07EFF11F
	v_cndmask_b32_e64 v29, v248, v250, s[78:79]                // 00000000CD6C: D100001D 013BF5F8
	v_and_or_b32 v192, v29, v249, v28                          // 00000000CD74: D20100C0 0473F31D
	v_mov_b32_e32 v30, v234                                    // 00000000CD7C: 7E3C03EA
	v_mov_b32_e32 v31, v235                                    // 00000000CD80: 7E3E03EB
	v_cmp_u_f32_e64 s[78:79], v30, v30                         // 00000000CD84: D048004E 00023D1E
	v_bfe_u32 v248, v30, 16, 1                                 // 00000000CD8C: D1C800F8 0205211E
	v_add3_u32 v248, v30, v248, v251                           // 00000000CD94: D1FF00F8 07EFF11E
	v_cndmask_b32_e64 v28, v248, v250, s[78:79]                // 00000000CD9C: D100001C 013BF5F8
	v_lshrrev_b32_e32 v28, 16, v28                             // 00000000CDA4: 20383890
	v_cmp_u_f32_e64 s[78:79], v31, v31                         // 00000000CDA8: D048004E 00023F1F
	v_bfe_u32 v248, v31, 16, 1                                 // 00000000CDB0: D1C800F8 0205211F
	v_add3_u32 v248, v31, v248, v251                           // 00000000CDB8: D1FF00F8 07EFF11F
	v_cndmask_b32_e64 v29, v248, v250, s[78:79]                // 00000000CDC0: D100001D 013BF5F8
	v_and_or_b32 v193, v29, v249, v28                          // 00000000CDC8: D20100C1 0473F31D
	v_mov_b32_e32 v30, v236                                    // 00000000CDD0: 7E3C03EC
	v_mov_b32_e32 v31, v237                                    // 00000000CDD4: 7E3E03ED
	v_cmp_u_f32_e64 s[78:79], v30, v30                         // 00000000CDD8: D048004E 00023D1E
	v_bfe_u32 v248, v30, 16, 1                                 // 00000000CDE0: D1C800F8 0205211E
	v_add3_u32 v248, v30, v248, v251                           // 00000000CDE8: D1FF00F8 07EFF11E
	v_cndmask_b32_e64 v28, v248, v250, s[78:79]                // 00000000CDF0: D100001C 013BF5F8
	v_lshrrev_b32_e32 v28, 16, v28                             // 00000000CDF8: 20383890
	v_cmp_u_f32_e64 s[78:79], v31, v31                         // 00000000CDFC: D048004E 00023F1F
	v_bfe_u32 v248, v31, 16, 1                                 // 00000000CE04: D1C800F8 0205211F
	v_add3_u32 v248, v31, v248, v251                           // 00000000CE0C: D1FF00F8 07EFF11F
	v_cndmask_b32_e64 v29, v248, v250, s[78:79]                // 00000000CE14: D100001D 013BF5F8
	v_and_or_b32 v194, v29, v249, v28                          // 00000000CE1C: D20100C2 0473F31D
	v_mov_b32_e32 v30, v238                                    // 00000000CE24: 7E3C03EE
	v_mov_b32_e32 v31, v239                                    // 00000000CE28: 7E3E03EF
	v_cmp_u_f32_e64 s[78:79], v30, v30                         // 00000000CE2C: D048004E 00023D1E
	v_bfe_u32 v248, v30, 16, 1                                 // 00000000CE34: D1C800F8 0205211E
	v_add3_u32 v248, v30, v248, v251                           // 00000000CE3C: D1FF00F8 07EFF11E
	v_cndmask_b32_e64 v28, v248, v250, s[78:79]                // 00000000CE44: D100001C 013BF5F8
	v_lshrrev_b32_e32 v28, 16, v28                             // 00000000CE4C: 20383890
	v_cmp_u_f32_e64 s[78:79], v31, v31                         // 00000000CE50: D048004E 00023F1F
	v_bfe_u32 v248, v31, 16, 1                                 // 00000000CE58: D1C800F8 0205211F
	v_add3_u32 v248, v31, v248, v251                           // 00000000CE60: D1FF00F8 07EFF11F
	v_cndmask_b32_e64 v29, v248, v250, s[78:79]                // 00000000CE68: D100001D 013BF5F8
	v_and_or_b32 v195, v29, v249, v28                          // 00000000CE70: D20100C3 0473F31D
	v_mov_b32_e32 v30, v240                                    // 00000000CE78: 7E3C03F0
	v_mov_b32_e32 v31, v241                                    // 00000000CE7C: 7E3E03F1
	v_cmp_u_f32_e64 s[78:79], v30, v30                         // 00000000CE80: D048004E 00023D1E
	v_bfe_u32 v248, v30, 16, 1                                 // 00000000CE88: D1C800F8 0205211E
	v_add3_u32 v248, v30, v248, v251                           // 00000000CE90: D1FF00F8 07EFF11E
	v_cndmask_b32_e64 v28, v248, v250, s[78:79]                // 00000000CE98: D100001C 013BF5F8
	v_lshrrev_b32_e32 v28, 16, v28                             // 00000000CEA0: 20383890
	v_cmp_u_f32_e64 s[78:79], v31, v31                         // 00000000CEA4: D048004E 00023F1F
	v_bfe_u32 v248, v31, 16, 1                                 // 00000000CEAC: D1C800F8 0205211F
	v_add3_u32 v248, v31, v248, v251                           // 00000000CEB4: D1FF00F8 07EFF11F
	v_cndmask_b32_e64 v29, v248, v250, s[78:79]                // 00000000CEBC: D100001D 013BF5F8
	v_and_or_b32 v196, v29, v249, v28                          // 00000000CEC4: D20100C4 0473F31D
	v_mov_b32_e32 v30, v242                                    // 00000000CECC: 7E3C03F2
	v_mov_b32_e32 v31, v243                                    // 00000000CED0: 7E3E03F3
	v_cmp_u_f32_e64 s[78:79], v30, v30                         // 00000000CED4: D048004E 00023D1E
	v_bfe_u32 v248, v30, 16, 1                                 // 00000000CEDC: D1C800F8 0205211E
	v_add3_u32 v248, v30, v248, v251                           // 00000000CEE4: D1FF00F8 07EFF11E
	v_cndmask_b32_e64 v28, v248, v250, s[78:79]                // 00000000CEEC: D100001C 013BF5F8
	v_lshrrev_b32_e32 v28, 16, v28                             // 00000000CEF4: 20383890
	v_cmp_u_f32_e64 s[78:79], v31, v31                         // 00000000CEF8: D048004E 00023F1F
	v_bfe_u32 v248, v31, 16, 1                                 // 00000000CF00: D1C800F8 0205211F
	v_add3_u32 v248, v31, v248, v251                           // 00000000CF08: D1FF00F8 07EFF11F
	v_cndmask_b32_e64 v29, v248, v250, s[78:79]                // 00000000CF10: D100001D 013BF5F8
	v_and_or_b32 v197, v29, v249, v28                          // 00000000CF18: D20100C5 0473F31D
	v_mov_b32_e32 v30, v244                                    // 00000000CF20: 7E3C03F4
	v_mov_b32_e32 v31, v245                                    // 00000000CF24: 7E3E03F5
	v_cmp_u_f32_e64 s[78:79], v30, v30                         // 00000000CF28: D048004E 00023D1E
	v_bfe_u32 v248, v30, 16, 1                                 // 00000000CF30: D1C800F8 0205211E
	v_add3_u32 v248, v30, v248, v251                           // 00000000CF38: D1FF00F8 07EFF11E
	v_cndmask_b32_e64 v28, v248, v250, s[78:79]                // 00000000CF40: D100001C 013BF5F8
	v_lshrrev_b32_e32 v28, 16, v28                             // 00000000CF48: 20383890
	v_cmp_u_f32_e64 s[78:79], v31, v31                         // 00000000CF4C: D048004E 00023F1F
	v_bfe_u32 v248, v31, 16, 1                                 // 00000000CF54: D1C800F8 0205211F
	v_add3_u32 v248, v31, v248, v251                           // 00000000CF5C: D1FF00F8 07EFF11F
	v_cndmask_b32_e64 v29, v248, v250, s[78:79]                // 00000000CF64: D100001D 013BF5F8
	v_and_or_b32 v198, v29, v249, v28                          // 00000000CF6C: D20100C6 0473F31D
	v_mov_b32_e32 v30, v246                                    // 00000000CF74: 7E3C03F6
	v_mov_b32_e32 v31, v247                                    // 00000000CF78: 7E3E03F7
	v_cmp_u_f32_e64 s[78:79], v30, v30                         // 00000000CF7C: D048004E 00023D1E
	v_bfe_u32 v248, v30, 16, 1                                 // 00000000CF84: D1C800F8 0205211E
	v_add3_u32 v248, v30, v248, v251                           // 00000000CF8C: D1FF00F8 07EFF11E
	v_cndmask_b32_e64 v28, v248, v250, s[78:79]                // 00000000CF94: D100001C 013BF5F8
	v_lshrrev_b32_e32 v28, 16, v28                             // 00000000CF9C: 20383890
	v_cmp_u_f32_e64 s[78:79], v31, v31                         // 00000000CFA0: D048004E 00023F1F
	v_bfe_u32 v248, v31, 16, 1                                 // 00000000CFA8: D1C800F8 0205211F
	v_add3_u32 v248, v31, v248, v251                           // 00000000CFB0: D1FF00F8 07EFF11F
	v_cndmask_b32_e64 v29, v248, v250, s[78:79]                // 00000000CFB8: D100001D 013BF5F8
	v_and_or_b32 v199, v29, v249, v28                          // 00000000CFC0: D20100C7 0473F31D
	ds_write_b64 v25, v[184:185] offset:33792                  // 00000000CFC8: D89A8400 0000B819
	ds_write_b64 v25, v[186:187] offset:34320                  // 00000000CFD0: D89A8610 0000BA19
	ds_write_b64 v25, v[188:189] offset:34848                  // 00000000CFD8: D89A8820 0000BC19
	ds_write_b64 v25, v[190:191] offset:35376                  // 00000000CFE0: D89A8A30 0000BE19
	ds_write_b64 v25, v[192:193] offset:35904                  // 00000000CFE8: D89A8C40 0000C019
	ds_write_b64 v25, v[194:195] offset:36432                  // 00000000CFF0: D89A8E50 0000C219
	ds_write_b64 v25, v[196:197] offset:36960                  // 00000000CFF8: D89A9060 0000C419
	ds_write_b64 v25, v[198:199] offset:37488                  // 00000000D000: D89A9270 0000C619
	s_waitcnt lgkmcnt(0)                                       // 00000000D008: BF8CC07F
	s_barrier                                                  // 00000000D00C: BF8A0000
	ds_read_b64 v[184:185], v24 offset:33792                   // 00000000D010: D8EC8400 B8000018
	ds_read_b64 v[186:187], v24 offset:33920                   // 00000000D018: D8EC8480 BA000018
	ds_read_b64 v[188:189], v24 offset:33824                   // 00000000D020: D8EC8420 BC000018
	ds_read_b64 v[190:191], v24 offset:33952                   // 00000000D028: D8EC84A0 BE000018
	ds_read_b64 v[192:193], v24 offset:33856                   // 00000000D030: D8EC8440 C0000018
	ds_read_b64 v[194:195], v24 offset:33984                   // 00000000D038: D8EC84C0 C2000018
	ds_read_b64 v[196:197], v24 offset:33888                   // 00000000D040: D8EC8460 C4000018
	ds_read_b64 v[198:199], v24 offset:34016                   // 00000000D048: D8EC84E0 C6000018
	s_waitcnt lgkmcnt(0)                                       // 00000000D050: BF8CC07F
	s_mov_b32 s70, s53                                         // 00000000D054: BEC60035
	s_mov_b64 exec, s[82:83]                                   // 00000000D058: BEFE0152
	buffer_store_dwordx4 v[184:187], v6, s[40:43], 0 idxen     // 00000000D05C: E07C2000 800AB806
	s_mov_b32 exec_lo, -1                                      // 00000000D064: BEFE00C1
	s_mov_b32 exec_hi, -1                                      // 00000000D068: BEFF00C1
	v_add_u32_e32 v6, s70, v6                                  // 00000000D06C: 680C0C46
	s_mov_b64 exec, s[82:83]                                   // 00000000D070: BEFE0152
	buffer_store_dwordx4 v[188:191], v6, s[40:43], 0 idxen     // 00000000D074: E07C2000 800ABC06
	s_mov_b32 exec_lo, -1                                      // 00000000D07C: BEFE00C1
	s_mov_b32 exec_hi, -1                                      // 00000000D080: BEFF00C1
	v_add_u32_e32 v6, s70, v6                                  // 00000000D084: 680C0C46
	s_mov_b64 exec, s[82:83]                                   // 00000000D088: BEFE0152
	buffer_store_dwordx4 v[192:195], v6, s[40:43], 0 idxen     // 00000000D08C: E07C2000 800AC006
	s_mov_b32 exec_lo, -1                                      // 00000000D094: BEFE00C1
	s_mov_b32 exec_hi, -1                                      // 00000000D098: BEFF00C1
	v_add_u32_e32 v6, s70, v6                                  // 00000000D09C: 680C0C46
	s_mov_b64 exec, s[82:83]                                   // 00000000D0A0: BEFE0152
	buffer_store_dwordx4 v[196:199], v6, s[40:43], 0 idxen     // 00000000D0A4: E07C2000 800AC406
	s_mov_b32 exec_lo, -1                                      // 00000000D0AC: BEFE00C1
	s_mov_b32 exec_hi, -1                                      // 00000000D0B0: BEFF00C1
	v_add_u32_e32 v6, s70, v6                                  // 00000000D0B4: 680C0C46
	s_mul_i32 s60, 12, s70                                     // 00000000D0B8: 923C468C
	v_add_u32_e32 v6, s60, v6                                  // 00000000D0BC: 680C0C3C
	s_cmp_ge_i32 3, s72                                        // 00000000D0C0: BF034883
	s_cbranch_scc1 label_24C6                                  // 00000000D0C4: BF850000

000000000000d0c8 <label_24C6>:
	s_waitcnt vmcnt(0) expcnt(0) lgkmcnt(0)                    // 00000000D0C8: BF8C0000
	s_sub_i32 s60, s77, 1                                      // 00000000D0CC: 81BC814D
	s_sub_i32 s2, s60, s2                                      // 00000000D0D0: 8182023C
	s_addk_i32 s75, 0x1                                        // 00000000D0D4: B74B0001
	s_cmp_lt_i32 s75, s76                                      // 00000000D0D8: BF044C4B
	s_cbranch_scc1 label_0163                                  // 00000000D0DC: BF85DCAB

000000000000d0e0 <label_24CC>:
	s_waitcnt vmcnt(0) expcnt(0) lgkmcnt(0)                    // 00000000D0E0: BF8C0000
	s_endpgm                                                   // 00000000D0E4: BF810000
